;; amdgpu-corpus repo=ROCm/flash-attention kind=compiled arch=gfx90a opt=O3
	.text
	.amdgcn_target "amdgcn-amd-amdhsa--gfx90a"
	.amdhsa_code_object_version 6
	.section	.text._ZN7ck_tileL11flush_cacheEv,"axG",@progbits,_ZN7ck_tileL11flush_cacheEv,comdat
	.globl	_ZN7ck_tileL11flush_cacheEv     ; -- Begin function _ZN7ck_tileL11flush_cacheEv
	.p2align	8
	.type	_ZN7ck_tileL11flush_cacheEv,@function
_ZN7ck_tileL11flush_cacheEv:            ; @_ZN7ck_tileL11flush_cacheEv
; %bb.0:
	;;#ASMSTART
	s_icache_inv 
	s_nop 0 
	s_nop 0 
	;; [unrolled: 1-line block ×16, first 2 shown]
	
	;;#ASMEND
	s_endpgm
	.section	.rodata,"a",@progbits
	.p2align	6, 0x0
	.amdhsa_kernel _ZN7ck_tileL11flush_cacheEv
		.amdhsa_group_segment_fixed_size 0
		.amdhsa_private_segment_fixed_size 0
		.amdhsa_kernarg_size 0
		.amdhsa_user_sgpr_count 4
		.amdhsa_user_sgpr_private_segment_buffer 1
		.amdhsa_user_sgpr_dispatch_ptr 0
		.amdhsa_user_sgpr_queue_ptr 0
		.amdhsa_user_sgpr_kernarg_segment_ptr 0
		.amdhsa_user_sgpr_dispatch_id 0
		.amdhsa_user_sgpr_flat_scratch_init 0
		.amdhsa_user_sgpr_kernarg_preload_length 0
		.amdhsa_user_sgpr_kernarg_preload_offset 0
		.amdhsa_user_sgpr_private_segment_size 0
		.amdhsa_uses_dynamic_stack 0
		.amdhsa_system_sgpr_private_segment_wavefront_offset 0
		.amdhsa_system_sgpr_workgroup_id_x 1
		.amdhsa_system_sgpr_workgroup_id_y 0
		.amdhsa_system_sgpr_workgroup_id_z 0
		.amdhsa_system_sgpr_workgroup_info 0
		.amdhsa_system_vgpr_workitem_id 0
		.amdhsa_next_free_vgpr 1
		.amdhsa_next_free_sgpr 0
		.amdhsa_accum_offset 4
		.amdhsa_reserve_vcc 0
		.amdhsa_reserve_flat_scratch 0
		.amdhsa_float_round_mode_32 0
		.amdhsa_float_round_mode_16_64 0
		.amdhsa_float_denorm_mode_32 0
		.amdhsa_float_denorm_mode_16_64 3
		.amdhsa_dx10_clamp 1
		.amdhsa_ieee_mode 1
		.amdhsa_fp16_overflow 0
		.amdhsa_tg_split 0
		.amdhsa_exception_fp_ieee_invalid_op 0
		.amdhsa_exception_fp_denorm_src 0
		.amdhsa_exception_fp_ieee_div_zero 0
		.amdhsa_exception_fp_ieee_overflow 0
		.amdhsa_exception_fp_ieee_underflow 0
		.amdhsa_exception_fp_ieee_inexact 0
		.amdhsa_exception_int_div_zero 0
	.end_amdhsa_kernel
	.section	.text._ZN7ck_tileL11flush_cacheEv,"axG",@progbits,_ZN7ck_tileL11flush_cacheEv,comdat
.Lfunc_end0:
	.size	_ZN7ck_tileL11flush_cacheEv, .Lfunc_end0-_ZN7ck_tileL11flush_cacheEv
                                        ; -- End function
	.section	.AMDGPU.csdata,"",@progbits
; Kernel info:
; codeLenInByte = 140
; NumSgprs: 4
; NumVgprs: 0
; NumAgprs: 0
; TotalNumVgprs: 0
; ScratchSize: 0
; MemoryBound: 0
; FloatMode: 192
; IeeeMode: 1
; LDSByteSize: 0 bytes/workgroup (compile time only)
; SGPRBlocks: 0
; VGPRBlocks: 0
; NumSGPRsForWavesPerEU: 4
; NumVGPRsForWavesPerEU: 1
; AccumOffset: 4
; Occupancy: 8
; WaveLimiterHint : 0
; COMPUTE_PGM_RSRC2:SCRATCH_EN: 0
; COMPUTE_PGM_RSRC2:USER_SGPR: 4
; COMPUTE_PGM_RSRC2:TRAP_HANDLER: 0
; COMPUTE_PGM_RSRC2:TGID_X_EN: 1
; COMPUTE_PGM_RSRC2:TGID_Y_EN: 0
; COMPUTE_PGM_RSRC2:TGID_Z_EN: 0
; COMPUTE_PGM_RSRC2:TIDIG_COMP_CNT: 0
; COMPUTE_PGM_RSRC3_GFX90A:ACCUM_OFFSET: 0
; COMPUTE_PGM_RSRC3_GFX90A:TG_SPLIT: 0
	.section	.text._ZN7ck_tile6kentryINS_6gfx9_tELi3ENS_27FmhaFwdSplitKVCombineKernelINS_34BlockFmhaFwdSplitKVCombinePipelineINS_38BlockFmhaSplitKVCombinePipelineProblemIffDF16_Li128ELb0ELi32ENS_31TileFmhaFwdSplitKVCombineTraitsILb0ELb0ELb1ELb0ELi3ELin1EEEEENS_47BlockFmhaFwdSplitKVCombinePipelineDefaultPolicyEEENS_17Default2DEpilogueINS_24Default2DEpilogueProblemIfDF16_Lb0ELb0ELb1EEEvEEEEJNSE_14BatchModeKargsEEEENSt9enable_ifIXnt26kattr_no_packed_fp32_ops_vIT_EEvE4typeEDpT2_,"axG",@progbits,_ZN7ck_tile6kentryINS_6gfx9_tELi3ENS_27FmhaFwdSplitKVCombineKernelINS_34BlockFmhaFwdSplitKVCombinePipelineINS_38BlockFmhaSplitKVCombinePipelineProblemIffDF16_Li128ELb0ELi32ENS_31TileFmhaFwdSplitKVCombineTraitsILb0ELb0ELb1ELb0ELi3ELin1EEEEENS_47BlockFmhaFwdSplitKVCombinePipelineDefaultPolicyEEENS_17Default2DEpilogueINS_24Default2DEpilogueProblemIfDF16_Lb0ELb0ELb1EEEvEEEEJNSE_14BatchModeKargsEEEENSt9enable_ifIXnt26kattr_no_packed_fp32_ops_vIT_EEvE4typeEDpT2_,comdat
	.protected	_ZN7ck_tile6kentryINS_6gfx9_tELi3ENS_27FmhaFwdSplitKVCombineKernelINS_34BlockFmhaFwdSplitKVCombinePipelineINS_38BlockFmhaSplitKVCombinePipelineProblemIffDF16_Li128ELb0ELi32ENS_31TileFmhaFwdSplitKVCombineTraitsILb0ELb0ELb1ELb0ELi3ELin1EEEEENS_47BlockFmhaFwdSplitKVCombinePipelineDefaultPolicyEEENS_17Default2DEpilogueINS_24Default2DEpilogueProblemIfDF16_Lb0ELb0ELb1EEEvEEEEJNSE_14BatchModeKargsEEEENSt9enable_ifIXnt26kattr_no_packed_fp32_ops_vIT_EEvE4typeEDpT2_ ; -- Begin function _ZN7ck_tile6kentryINS_6gfx9_tELi3ENS_27FmhaFwdSplitKVCombineKernelINS_34BlockFmhaFwdSplitKVCombinePipelineINS_38BlockFmhaSplitKVCombinePipelineProblemIffDF16_Li128ELb0ELi32ENS_31TileFmhaFwdSplitKVCombineTraitsILb0ELb0ELb1ELb0ELi3ELin1EEEEENS_47BlockFmhaFwdSplitKVCombinePipelineDefaultPolicyEEENS_17Default2DEpilogueINS_24Default2DEpilogueProblemIfDF16_Lb0ELb0ELb1EEEvEEEEJNSE_14BatchModeKargsEEEENSt9enable_ifIXnt26kattr_no_packed_fp32_ops_vIT_EEvE4typeEDpT2_
	.globl	_ZN7ck_tile6kentryINS_6gfx9_tELi3ENS_27FmhaFwdSplitKVCombineKernelINS_34BlockFmhaFwdSplitKVCombinePipelineINS_38BlockFmhaSplitKVCombinePipelineProblemIffDF16_Li128ELb0ELi32ENS_31TileFmhaFwdSplitKVCombineTraitsILb0ELb0ELb1ELb0ELi3ELin1EEEEENS_47BlockFmhaFwdSplitKVCombinePipelineDefaultPolicyEEENS_17Default2DEpilogueINS_24Default2DEpilogueProblemIfDF16_Lb0ELb0ELb1EEEvEEEEJNSE_14BatchModeKargsEEEENSt9enable_ifIXnt26kattr_no_packed_fp32_ops_vIT_EEvE4typeEDpT2_
	.p2align	8
	.type	_ZN7ck_tile6kentryINS_6gfx9_tELi3ENS_27FmhaFwdSplitKVCombineKernelINS_34BlockFmhaFwdSplitKVCombinePipelineINS_38BlockFmhaSplitKVCombinePipelineProblemIffDF16_Li128ELb0ELi32ENS_31TileFmhaFwdSplitKVCombineTraitsILb0ELb0ELb1ELb0ELi3ELin1EEEEENS_47BlockFmhaFwdSplitKVCombinePipelineDefaultPolicyEEENS_17Default2DEpilogueINS_24Default2DEpilogueProblemIfDF16_Lb0ELb0ELb1EEEvEEEEJNSE_14BatchModeKargsEEEENSt9enable_ifIXnt26kattr_no_packed_fp32_ops_vIT_EEvE4typeEDpT2_,@function
_ZN7ck_tile6kentryINS_6gfx9_tELi3ENS_27FmhaFwdSplitKVCombineKernelINS_34BlockFmhaFwdSplitKVCombinePipelineINS_38BlockFmhaSplitKVCombinePipelineProblemIffDF16_Li128ELb0ELi32ENS_31TileFmhaFwdSplitKVCombineTraitsILb0ELb0ELb1ELb0ELi3ELin1EEEEENS_47BlockFmhaFwdSplitKVCombinePipelineDefaultPolicyEEENS_17Default2DEpilogueINS_24Default2DEpilogueProblemIfDF16_Lb0ELb0ELb1EEEvEEEEJNSE_14BatchModeKargsEEEENSt9enable_ifIXnt26kattr_no_packed_fp32_ops_vIT_EEvE4typeEDpT2_: ; @_ZN7ck_tile6kentryINS_6gfx9_tELi3ENS_27FmhaFwdSplitKVCombineKernelINS_34BlockFmhaFwdSplitKVCombinePipelineINS_38BlockFmhaSplitKVCombinePipelineProblemIffDF16_Li128ELb0ELi32ENS_31TileFmhaFwdSplitKVCombineTraitsILb0ELb0ELb1ELb0ELi3ELin1EEEEENS_47BlockFmhaFwdSplitKVCombinePipelineDefaultPolicyEEENS_17Default2DEpilogueINS_24Default2DEpilogueProblemIfDF16_Lb0ELb0ELb1EEEvEEEEJNSE_14BatchModeKargsEEEENSt9enable_ifIXnt26kattr_no_packed_fp32_ops_vIT_EEvE4typeEDpT2_
; %bb.0:
	s_load_dwordx8 s[12:19], s[4:5], 0x1c
	s_mov_b32 s36, -1
	s_waitcnt lgkmcnt(0)
	s_add_i32 s0, s13, 31
	s_ashr_i32 s1, s0, 31
	s_lshr_b32 s1, s1, 27
	s_add_i32 s30, s0, s1
	s_ashr_i32 s26, s30, 5
	s_abs_i32 s27, s26
	v_cvt_f32_u32_e32 v1, s27
	s_sub_i32 s31, 0, s27
	s_load_dwordx4 s[0:3], s[4:5], 0x0
	s_load_dwordx2 s[10:11], s[4:5], 0x10
	s_load_dwordx2 s[28:29], s[4:5], 0x3c
	s_load_dwordx2 s[24:25], s[4:5], 0x48
	s_load_dword s9, s[4:5], 0x60
	s_load_dwordx4 s[20:23], s[4:5], 0x50
	v_rcp_iflag_f32_e32 v1, v1
	s_ashr_i32 s4, s6, 31
	s_ashr_i32 s30, s30, 31
	s_abs_i32 s5, s6
	v_mul_f32_e32 v1, 0x4f7ffffe, v1
	v_cvt_u32_f32_e32 v1, v1
	s_add_i32 s39, s14, 3
	v_readfirstlane_b32 s33, v1
	s_mul_i32 s31, s31, s33
	s_mul_hi_u32 s31, s33, s31
	s_add_i32 s33, s33, s31
	s_getpc_b64 s[34:35]
	s_add_u32 s34, s34, _ZN7ck_tile34BlockFmhaFwdSplitKVCombinePipelineINS_38BlockFmhaSplitKVCombinePipelineProblemIffDF16_Li128ELb0ELi32ENS_31TileFmhaFwdSplitKVCombineTraitsILb0ELb0ELb1ELb0ELi3ELin1EEEEENS_47BlockFmhaFwdSplitKVCombinePipelineDefaultPolicyEE3kM0E@rel32@lo+4
	s_addc_u32 s35, s35, _ZN7ck_tile34BlockFmhaFwdSplitKVCombinePipelineINS_38BlockFmhaSplitKVCombinePipelineProblemIffDF16_Li128ELb0ELi32ENS_31TileFmhaFwdSplitKVCombineTraitsILb0ELb0ELb1ELb0ELi3ELin1EEEEENS_47BlockFmhaFwdSplitKVCombinePipelineDefaultPolicyEE3kM0E@rel32@hi+12
	s_load_dword s34, s[34:35], 0x0
	s_mul_hi_u32 s31, s5, s33
	s_ashr_i32 s33, s39, 31
	s_lshr_b32 s33, s33, 30
	s_add_i32 s33, s39, s33
	s_ashr_i32 s38, s33, 2
	s_and_b32 s35, s33, -4
.LBB1_1:                                ; =>This Inner Loop Header: Depth=1
	s_add_i32 s36, s36, 1
	s_lshl_b32 s33, 1, s36
	s_cmp_lt_u32 s33, s35
	s_cbranch_scc1 .LBB1_1
; %bb.2:
	s_mov_b32 s37, -1
.LBB1_3:                                ; =>This Inner Loop Header: Depth=1
	s_add_i32 s37, s37, 1
	s_lshl_b32 s33, 1, s37
	s_waitcnt lgkmcnt(0)
	s_cmp_lt_u32 s33, s34
	s_cbranch_scc1 .LBB1_3
; %bb.4:
	s_xor_b32 s4, s4, s30
	s_mul_i32 s30, s31, s27
	s_sub_i32 s5, s5, s30
	s_add_i32 s30, s31, 1
	s_sub_i32 s33, s5, s27
	s_cmp_ge_u32 s5, s27
	s_cselect_b32 s30, s30, s31
	s_cselect_b32 s5, s33, s5
	s_add_i32 s31, s30, 1
	s_cmp_ge_u32 s5, s27
	s_cselect_b32 s5, s31, s30
	s_xor_b32 s5, s5, s4
	s_sub_i32 s40, s5, s4
	s_mul_i32 s4, s40, s26
	s_sub_i32 s4, s6, s4
	s_lshl_b32 s6, s4, 5
	s_lshl_b64 s[4:5], 1, s36
	s_lshl_b32 s33, s40, 3
	s_mov_b32 s26, 0
	s_sub_i32 s27, s4, s35
	s_cmp_lg_u64 s[26:27], 0
	s_cbranch_scc0 .LBB1_35
; %bb.5:
	v_cvt_f32_u32_e32 v1, s35
	v_mov_b32_e32 v2, 0x4f800000
	s_sub_u32 s26, 0, s35
	s_subb_u32 s30, 0, 0
	v_mac_f32_e32 v1, 0, v2
	v_rcp_f32_e32 v1, v1
	v_mul_f32_e32 v1, 0x5f7ffffc, v1
	v_mul_f32_e32 v2, 0x2f800000, v1
	v_trunc_f32_e32 v2, v2
	v_madmk_f32 v1, v2, 0xcf800000, v1
	v_cvt_u32_f32_e32 v2, v2
	v_cvt_u32_f32_e32 v1, v1
	v_readfirstlane_b32 s31, v2
	v_readfirstlane_b32 s41, v1
	s_mul_i32 s42, s26, s31
	s_mul_hi_u32 s44, s26, s41
	s_mul_i32 s43, s30, s41
	s_add_i32 s42, s44, s42
	s_add_i32 s42, s42, s43
	s_mul_i32 s45, s26, s41
	s_mul_hi_u32 s43, s41, s42
	s_mul_i32 s44, s41, s42
	s_mul_hi_u32 s41, s41, s45
	s_add_u32 s41, s41, s44
	s_addc_u32 s43, 0, s43
	s_mul_hi_u32 s46, s31, s45
	s_mul_i32 s45, s31, s45
	s_add_u32 s41, s41, s45
	s_mul_hi_u32 s44, s31, s42
	s_addc_u32 s41, s43, s46
	s_addc_u32 s43, s44, 0
	s_mul_i32 s42, s31, s42
	s_add_u32 s41, s41, s42
	s_addc_u32 s42, 0, s43
	v_add_co_u32_e32 v1, vcc, s41, v1
	s_cmp_lg_u64 vcc, 0
	s_addc_u32 s31, s31, s42
	v_readfirstlane_b32 s42, v1
	s_mul_i32 s41, s26, s31
	s_mul_hi_u32 s43, s26, s42
	s_add_i32 s41, s43, s41
	s_mul_i32 s30, s30, s42
	s_add_i32 s41, s41, s30
	s_mul_i32 s26, s26, s42
	s_mul_hi_u32 s43, s31, s26
	s_mul_i32 s44, s31, s26
	s_mul_i32 s46, s42, s41
	s_mul_hi_u32 s26, s42, s26
	s_mul_hi_u32 s45, s42, s41
	s_add_u32 s26, s26, s46
	s_addc_u32 s42, 0, s45
	s_add_u32 s26, s26, s44
	s_mul_hi_u32 s30, s31, s41
	s_addc_u32 s26, s42, s43
	s_addc_u32 s30, s30, 0
	s_mul_i32 s41, s31, s41
	s_add_u32 s26, s26, s41
	s_addc_u32 s30, 0, s30
	v_add_co_u32_e32 v1, vcc, s26, v1
	s_cmp_lg_u64 vcc, 0
	s_addc_u32 s26, s31, s30
	v_readfirstlane_b32 s41, v1
	s_mul_i32 s31, s26, 0
	s_mul_hi_u32 s42, 0, s41
	s_mul_hi_u32 s30, 0, s26
	s_add_u32 s31, s42, s31
	s_addc_u32 s30, 0, s30
	s_mul_hi_u32 s43, s27, s41
	s_mul_i32 s41, s27, s41
	s_add_u32 s31, s31, s41
	s_mul_hi_u32 s42, s27, s26
	s_addc_u32 s30, s30, s43
	s_addc_u32 s31, s42, 0
	s_mul_i32 s26, s27, s26
	s_add_u32 s26, s30, s26
	s_addc_u32 s30, 0, s31
	s_mul_i32 s30, s35, s30
	s_mul_hi_u32 s31, s35, s26
	s_add_i32 s43, s31, s30
	s_mul_i32 s30, s35, s26
	s_add_u32 s41, s26, 1
	s_add_u32 s42, s26, 2
	v_sub_co_u32_e64 v1, s[30:31], 0, s30
	s_cmp_lg_u64 s[30:31], 0
	s_subb_u32 s27, s27, s43
	v_subrev_co_u32_e32 v2, vcc, s35, v1
	s_cmp_lg_u64 vcc, 0
	s_subb_u32 s30, s27, 0
	v_cmp_le_u32_e32 vcc, s35, v2
	s_cmp_eq_u32 s30, 0
	v_cndmask_b32_e64 v2, 0, -1, vcc
	s_cselect_b64 vcc, -1, 0
	v_cndmask_b32_e32 v2, -1, v2, vcc
	v_mov_b32_e32 v3, s41
	v_mov_b32_e32 v4, s42
	v_cmp_ne_u32_e32 vcc, 0, v2
	v_cndmask_b32_e32 v2, v3, v4, vcc
	v_cmp_le_u32_e32 vcc, s35, v1
	s_cmp_eq_u32 s27, 0
	v_cndmask_b32_e64 v1, 0, -1, vcc
	s_cselect_b64 vcc, -1, 0
	v_cndmask_b32_e32 v1, -1, v1, vcc
	v_mov_b32_e32 v3, s26
	v_cmp_ne_u32_e32 vcc, 0, v1
	v_cndmask_b32_e32 v4, v3, v2, vcc
	s_cbranch_execnz .LBB1_7
.LBB1_6:
	v_cvt_f32_u32_e32 v1, s35
	s_sub_i32 s4, 0, s35
	s_mov_b32 s5, 0
	v_rcp_iflag_f32_e32 v1, v1
	v_mul_f32_e32 v1, 0x4f7ffffe, v1
	v_cvt_u32_f32_e32 v1, v1
	v_readfirstlane_b32 s26, v1
	s_mul_i32 s4, s4, s26
	s_mul_hi_u32 s4, s26, s4
	s_add_i32 s26, s26, s4
	s_mul_hi_u32 s4, 0, s26
	s_mul_i32 s27, s4, s35
	s_sub_i32 s27, 0, s27
	s_add_i32 s26, s4, 1
	s_sub_i32 s30, s27, s35
	s_cmp_ge_u32 s27, s35
	s_cselect_b32 s4, s26, s4
	s_cselect_b32 s27, s30, s27
	s_add_i32 s26, s4, 1
	s_cmp_ge_u32 s27, s35
	s_cselect_b32 s4, s26, s4
	v_pk_mov_b32 v[4:5], s[4:5], s[4:5] op_sel:[0,1]
.LBB1_7:
	s_lshl_b64 s[4:5], 1, s37
	s_mov_b32 s26, 0
	s_sub_i32 s27, s4, s34
	s_cmp_lg_u64 s[26:27], 0
	s_cbranch_scc0 .LBB1_36
; %bb.8:
	v_cvt_f32_u32_e32 v1, s34
	v_mov_b32_e32 v2, 0x4f800000
	s_sub_u32 s26, 0, s34
	s_subb_u32 s30, 0, 0
	v_mac_f32_e32 v1, 0, v2
	v_rcp_f32_e32 v1, v1
	v_mul_f32_e32 v1, 0x5f7ffffc, v1
	v_mul_f32_e32 v2, 0x2f800000, v1
	v_trunc_f32_e32 v2, v2
	v_madmk_f32 v1, v2, 0xcf800000, v1
	v_cvt_u32_f32_e32 v2, v2
	v_cvt_u32_f32_e32 v1, v1
	v_readfirstlane_b32 s31, v2
	v_readfirstlane_b32 s41, v1
	s_mul_i32 s42, s26, s31
	s_mul_hi_u32 s44, s26, s41
	s_mul_i32 s43, s30, s41
	s_add_i32 s42, s44, s42
	s_add_i32 s42, s42, s43
	s_mul_i32 s45, s26, s41
	s_mul_hi_u32 s43, s41, s42
	s_mul_i32 s44, s41, s42
	s_mul_hi_u32 s41, s41, s45
	s_add_u32 s41, s41, s44
	s_addc_u32 s43, 0, s43
	s_mul_hi_u32 s46, s31, s45
	s_mul_i32 s45, s31, s45
	s_add_u32 s41, s41, s45
	s_mul_hi_u32 s44, s31, s42
	s_addc_u32 s41, s43, s46
	s_addc_u32 s43, s44, 0
	s_mul_i32 s42, s31, s42
	s_add_u32 s41, s41, s42
	s_addc_u32 s42, 0, s43
	v_add_co_u32_e32 v1, vcc, s41, v1
	s_cmp_lg_u64 vcc, 0
	s_addc_u32 s31, s31, s42
	v_readfirstlane_b32 s42, v1
	s_mul_i32 s41, s26, s31
	s_mul_hi_u32 s43, s26, s42
	s_add_i32 s41, s43, s41
	s_mul_i32 s30, s30, s42
	s_add_i32 s41, s41, s30
	s_mul_i32 s26, s26, s42
	s_mul_hi_u32 s43, s31, s26
	s_mul_i32 s44, s31, s26
	s_mul_i32 s46, s42, s41
	s_mul_hi_u32 s26, s42, s26
	s_mul_hi_u32 s45, s42, s41
	s_add_u32 s26, s26, s46
	s_addc_u32 s42, 0, s45
	s_add_u32 s26, s26, s44
	s_mul_hi_u32 s30, s31, s41
	s_addc_u32 s26, s42, s43
	s_addc_u32 s30, s30, 0
	s_mul_i32 s41, s31, s41
	s_add_u32 s26, s26, s41
	s_addc_u32 s30, 0, s30
	v_add_co_u32_e32 v1, vcc, s26, v1
	s_cmp_lg_u64 vcc, 0
	s_addc_u32 s26, s31, s30
	v_readfirstlane_b32 s41, v1
	s_mul_i32 s31, s26, 0
	s_mul_hi_u32 s42, 0, s41
	s_mul_hi_u32 s30, 0, s26
	s_add_u32 s31, s42, s31
	s_addc_u32 s30, 0, s30
	s_mul_hi_u32 s43, s27, s41
	s_mul_i32 s41, s27, s41
	s_add_u32 s31, s31, s41
	s_mul_hi_u32 s42, s27, s26
	s_addc_u32 s30, s30, s43
	s_addc_u32 s31, s42, 0
	s_mul_i32 s26, s27, s26
	s_add_u32 s26, s30, s26
	s_addc_u32 s30, 0, s31
	s_mul_i32 s30, s34, s30
	s_mul_hi_u32 s31, s34, s26
	s_add_i32 s43, s31, s30
	s_mul_i32 s30, s34, s26
	s_add_u32 s41, s26, 1
	s_add_u32 s42, s26, 2
	v_sub_co_u32_e64 v1, s[30:31], 0, s30
	s_cmp_lg_u64 s[30:31], 0
	s_subb_u32 s27, s27, s43
	v_subrev_co_u32_e32 v2, vcc, s34, v1
	s_cmp_lg_u64 vcc, 0
	s_subb_u32 s30, s27, 0
	v_cmp_le_u32_e32 vcc, s34, v2
	s_cmp_eq_u32 s30, 0
	v_cndmask_b32_e64 v2, 0, -1, vcc
	s_cselect_b64 vcc, -1, 0
	v_cndmask_b32_e32 v2, -1, v2, vcc
	v_mov_b32_e32 v3, s41
	v_mov_b32_e32 v5, s42
	v_cmp_ne_u32_e32 vcc, 0, v2
	v_cndmask_b32_e32 v2, v3, v5, vcc
	v_cmp_le_u32_e32 vcc, s34, v1
	s_cmp_eq_u32 s27, 0
	v_cndmask_b32_e64 v1, 0, -1, vcc
	s_cselect_b64 vcc, -1, 0
	v_cndmask_b32_e32 v1, -1, v1, vcc
	v_mov_b32_e32 v3, s26
	v_cmp_ne_u32_e32 vcc, 0, v1
	v_cndmask_b32_e32 v6, v3, v2, vcc
	s_cbranch_execnz .LBB1_10
.LBB1_9:
	v_cvt_f32_u32_e32 v1, s34
	s_sub_i32 s4, 0, s34
	s_mov_b32 s5, 0
	v_rcp_iflag_f32_e32 v1, v1
	v_mul_f32_e32 v1, 0x4f7ffffe, v1
	v_cvt_u32_f32_e32 v1, v1
	v_readfirstlane_b32 s26, v1
	s_mul_i32 s4, s4, s26
	s_mul_hi_u32 s4, s26, s4
	s_add_i32 s26, s26, s4
	s_mul_hi_u32 s4, 0, s26
	s_mul_i32 s27, s4, s34
	s_sub_i32 s27, 0, s27
	s_add_i32 s26, s4, 1
	s_sub_i32 s30, s27, s34
	s_cmp_ge_u32 s27, s34
	s_cselect_b32 s4, s26, s4
	s_cselect_b32 s27, s30, s27
	s_add_i32 s26, s4, 1
	s_cmp_ge_u32 s27, s34
	s_cselect_b32 s4, s26, s4
	v_pk_mov_b32 v[6:7], s[4:5], s[4:5] op_sel:[0,1]
.LBB1_10:
	v_mbcnt_lo_u32_b32 v1, -1, 0
	v_mbcnt_hi_u32_b32 v5, -1, v1
	v_lshrrev_b32_e32 v7, 3, v5
	s_add_i32 s41, s14, -1
	v_and_b32_e32 v8, 7, v5
	v_cmp_gt_i32_e32 vcc, s14, v7
	v_mov_b32_e32 v2, 0
	s_and_saveexec_b64 s[4:5], vcc
	s_cbranch_execz .LBB1_12
; %bb.11:
	s_mul_hi_i32 s31, s17, s7
	s_mul_i32 s30, s17, s7
	s_lshl_b64 s[30:31], s[30:31], 2
	s_mul_hi_i32 s27, s22, s8
	s_mul_i32 s26, s22, s8
	s_add_u32 s17, s0, s30
	s_addc_u32 s22, s1, s31
	s_lshl_b64 s[0:1], s[26:27], 2
	s_add_u32 s44, s17, s0
	s_mul_i32 s0, s28, s41
	s_addc_u32 s45, s22, s1
	s_add_i32 s0, s0, s12
	v_mul_lo_u32 v1, v7, s28
	v_add_u32_e32 v2, s33, v8
	v_add_lshl_u32 v1, v2, v1, 2
	s_lshl_b32 s46, s0, 2
	s_mov_b32 s47, 0x20000
	buffer_load_dword v2, v1, s[44:47], 0 offen
.LBB1_12:
	s_or_b64 exec, exec, s[4:5]
	v_lshlrev_b32_e32 v1, 2, v7
	v_mad_u32_u24 v1, v8, 36, v1
	s_waitcnt vmcnt(0)
	ds_write_b32 v1, v2
	; sched_barrier mask(0x00000000)
	v_mov_b32_e32 v2, 0xff800000
	v_mov_b32_e32 v3, 0xff800000
	s_waitcnt lgkmcnt(0)
	s_barrier
	s_and_saveexec_b64 s[0:1], vcc
	s_cbranch_execz .LBB1_14
; %bb.13:
	ds_read_b32 v3, v1
.LBB1_14:
	s_or_b64 exec, exec, s[0:1]
	s_waitcnt lgkmcnt(0)
	v_max_f32_e32 v9, v3, v3
	v_max_f32_e32 v9, 0xff800000, v9
	v_lshlrev_b32_e32 v10, 2, v5
	ds_bpermute_b32 v11, v10, v9 offset:128
	s_mov_b32 s0, 0x3fb8aa3b
	s_mov_b32 s5, 0x42b17218
	;; [unrolled: 1-line block ×3, first 2 shown]
	s_mov_b64 s[26:27], 0
	s_waitcnt lgkmcnt(0)
	v_max_f32_e32 v11, v11, v11
	v_max_f32_e32 v9, v9, v11
	ds_bpermute_b32 v11, v10, v9 offset:64
	s_waitcnt lgkmcnt(0)
	s_barrier
	v_max_f32_e32 v11, v11, v11
	v_max_f32_e32 v9, v9, v11
	ds_bpermute_b32 v11, v10, v9 offset:32
	s_waitcnt lgkmcnt(0)
	v_max_f32_e32 v11, v11, v11
	v_max_f32_e32 v9, v9, v11
	v_sub_f32_e32 v11, v3, v9
	v_mul_f32_e32 v12, 0x3fb8aa3b, v11
	v_fma_f32 v13, v11, s0, -v12
	v_rndne_f32_e32 v12, v12
	v_fmac_f32_e32 v13, 0x32a5705f, v11
	v_mad_f32 v14, v11, s0, -v12
	v_add_f32_e32 v13, v14, v13
	v_cvt_i32_f32_e32 v12, v12
	v_exp_f32_e32 v13, v13
	s_mov_b32 s0, 0xc2ce8ed0
	v_cmp_ngt_f32_e64 s[0:1], s0, v11
	v_mov_b32_e32 v14, 0x7f800000
	v_ldexp_f32 v12, v13, v12
	v_cndmask_b32_e64 v12, 0, v12, s[0:1]
	v_cmp_nlt_f32_e64 s[0:1], s5, v11
	v_cndmask_b32_e64 v11, v14, v12, s[0:1]
	v_cmp_neq_f32_e64 s[0:1], s4, v9
	v_cndmask_b32_e64 v11, 0, v11, s[0:1]
	ds_bpermute_b32 v12, v10, v11 offset:128
	s_mov_b32 s1, 0x3f317217
	s_mov_b32 s0, 0x7f800000
	s_waitcnt lgkmcnt(0)
	v_add_f32_e32 v11, v11, v12
	ds_bpermute_b32 v12, v10, v11 offset:64
	s_waitcnt lgkmcnt(0)
	v_add_f32_e32 v11, v11, v12
	ds_bpermute_b32 v12, v10, v11 offset:32
	s_waitcnt lgkmcnt(0)
	v_add_f32_e32 v11, v11, v12
	v_log_f32_e32 v12, v11
	v_mul_f32_e32 v13, 0x3f317217, v12
	v_fma_f32 v13, v12, s1, -v13
	v_fmac_f32_e32 v13, 0x3377d1cf, v12
	v_mac_f32_e32 v13, 0x3f317217, v12
	v_cmp_lt_f32_e64 s[0:1], |v12|, s0
	v_cndmask_b32_e64 v12, v12, v13, s[0:1]
	v_add_f32_e32 v9, v9, v12
	v_cmp_neq_f32_e64 s[0:1], 0, v11
	v_cndmask_b32_e64 v2, v2, v9, s[0:1]
	v_cmp_neq_f32_e64 s[0:1], s4, v2
                                        ; implicit-def: $vgpr9
	s_and_saveexec_b64 s[4:5], s[0:1]
	s_xor_b64 s[4:5], exec, s[4:5]
	s_cbranch_execnz .LBB1_31
; %bb.15:
	s_andn2_saveexec_b64 s[0:1], s[4:5]
	s_cbranch_execnz .LBB1_34
.LBB1_16:
	s_or_b64 exec, exec, s[0:1]
	s_and_saveexec_b64 s[0:1], s[26:27]
	s_cbranch_execz .LBB1_18
.LBB1_17:
	ds_write_b32 v1, v9
.LBB1_18:
	s_or_b64 exec, exec, s[0:1]
	s_mul_hi_i32 s5, s20, s7
	s_mul_i32 s4, s20, s7
	s_lshl_b64 s[4:5], s[4:5], 2
	s_mul_hi_i32 s1, s21, s8
	s_mul_i32 s0, s21, s8
	s_add_u32 s4, s24, s4
	s_addc_u32 s5, s25, s5
	s_lshl_b64 s[0:1], s[0:1], 2
	s_add_u32 s24, s4, s0
	v_lshrrev_b32_e32 v11, 6, v0
	s_addc_u32 s25, s5, s1
	s_add_i32 s4, s12, -1
	s_lshl_b32 s26, s12, 2
	s_mov_b32 s27, 0x20000
	v_add_lshl_u32 v0, v8, s33, 2
	v_readfirstlane_b32 s0, v11
	buffer_store_dword v2, v0, s[24:27], 0 offen
	; sched_barrier mask(0x00000000)
	s_mov_b32 s5, 0
	s_cmp_lt_i32 s39, 4
	v_mov_b32_e32 v3, 0
	v_mov_b32_e32 v2, 0
	;; [unrolled: 1-line block ×4, first 2 shown]
	s_waitcnt lgkmcnt(0)
	s_barrier
	s_cbranch_scc1 .LBB1_30
; %bb.19:
	s_mul_i32 s17, s15, s4
	s_mul_i32 s38, s38, s40
	;; [unrolled: 1-line block ×3, first 2 shown]
	s_add_i32 s17, s17, s13
	s_mul_hi_i32 s21, s23, s8
	s_mul_i32 s20, s23, s8
	s_mul_hi_i32 s23, s18, s7
	s_mul_i32 s22, s18, s7
	s_lshl_b32 s1, s38, 5
	s_add_i32 s17, s17, s12
	s_lshl_b64 s[22:23], s[22:23], 2
	s_add_u32 s12, s2, s22
	s_addc_u32 s18, s3, s23
	s_lshl_b64 s[2:3], s[20:21], 2
	s_add_u32 s24, s12, s2
	s_addc_u32 s25, s18, s3
	s_lshl_b32 s0, s0, 3
	s_add_i32 s0, s0, s1
	v_add_u32_e32 v12, 1, v6
	v_add_u32_e32 v14, s0, v7
	v_mul_hi_u32 v0, v12, v14
	v_add_u32_e32 v0, v14, v0
	v_add_u32_e32 v13, 1, v4
	v_lshrrev_b32_e32 v0, s37, v0
	v_mul_hi_u32 v1, v13, v0
	v_add_u32_e32 v1, v0, v1
	v_lshrrev_b32_e32 v17, s36, v1
	v_mul_lo_u32 v1, v17, s35
	v_sub_u32_e32 v18, v0, v1
	v_mul_lo_u32 v0, v0, s34
	v_sub_u32_e32 v6, v14, v0
	v_mad_u64_u32 v[0:1], s[0:1], v17, s34, v[6:7]
	v_lshl_add_u32 v2, v8, 2, s6
	v_mul_lo_u32 v3, v18, s29
	v_mul_lo_u32 v0, v0, s15
	v_add3_u32 v15, v2, v3, v0
	s_lshl_b32 s26, s17, 2
	v_mul_u32_u24_e32 v16, 36, v7
	v_add_u32_e32 v4, 32, v14
	s_sub_i32 s2, 0, s34
	v_mov_b32_e32 v0, 0
	v_mov_b32_e32 v19, v18
	;; [unrolled: 1-line block ×5, first 2 shown]
.LBB1_20:                               ; =>This Inner Loop Header: Depth=1
	v_cmp_gt_i32_e32 vcc, s14, v19
	v_lshlrev_b32_e32 v20, 2, v15
	v_mov_b32_e32 v8, 0
	s_and_saveexec_b64 s[0:1], vcc
	s_cbranch_execz .LBB1_22
; %bb.21:                               ;   in Loop: Header=BB1_20 Depth=1
	buffer_load_dword v8, v20, s[24:27], 0 offen
.LBB1_22:                               ;   in Loop: Header=BB1_20 Depth=1
	s_or_b64 exec, exec, s[0:1]
	v_mov_b32_e32 v9, 0
	s_and_saveexec_b64 s[0:1], vcc
	s_cbranch_execz .LBB1_24
; %bb.23:                               ;   in Loop: Header=BB1_20 Depth=1
	buffer_load_dword v9, v20, s[24:27], 0 offen offset:4
.LBB1_24:                               ;   in Loop: Header=BB1_20 Depth=1
	s_or_b64 exec, exec, s[0:1]
	v_mov_b32_e32 v21, 0
	v_mov_b32_e32 v22, 0
	s_and_saveexec_b64 s[0:1], vcc
	s_cbranch_execz .LBB1_26
; %bb.25:                               ;   in Loop: Header=BB1_20 Depth=1
	buffer_load_dword v22, v20, s[24:27], 0 offen offset:8
.LBB1_26:                               ;   in Loop: Header=BB1_20 Depth=1
	s_or_b64 exec, exec, s[0:1]
	s_and_saveexec_b64 s[0:1], vcc
	s_cbranch_execz .LBB1_28
; %bb.27:                               ;   in Loop: Header=BB1_20 Depth=1
	buffer_load_dword v21, v20, s[24:27], 0 offen offset:12
.LBB1_28:                               ;   in Loop: Header=BB1_20 Depth=1
	s_or_b64 exec, exec, s[0:1]
	v_readfirstlane_b32 s0, v11
	v_lshl_add_u32 v20, s0, 2, v16
	ds_read_b32 v20, v20
	v_add_u32_e32 v14, 32, v14
	s_add_i32 s5, s5, 4
	v_add_u32_e32 v16, 16, v16
	s_cmp_lt_i32 s5, s35
	s_waitcnt vmcnt(0) lgkmcnt(0)
	v_fmac_f32_e32 v0, v8, v20
	v_mul_hi_u32 v8, v12, v4
	v_add_u32_e32 v8, v14, v8
	v_fmac_f32_e32 v3, v21, v20
	v_lshrrev_b32_e32 v21, s37, v8
	v_fmac_f32_e32 v1, v9, v20
	v_mad_u64_u32 v[8:9], s[0:1], s2, v21, v[4:5]
	v_mul_hi_u32 v9, v13, v21
	v_add_u32_e32 v9, v21, v9
	v_lshrrev_b32_e32 v9, s36, v9
	v_sub_u32_e32 v17, v9, v17
	v_sub_u32_e32 v17, v17, v21
	v_fmac_f32_e32 v2, v22, v20
	v_mul_lo_u32 v20, v9, s35
	v_mul_lo_u32 v17, s34, v17
	v_sub_u32_e32 v20, v21, v20
	v_sub_u32_e32 v6, v17, v6
	;; [unrolled: 1-line block ×3, first 2 shown]
	v_add_u32_e32 v6, v4, v6
	v_mul_lo_u32 v17, v18, s29
	v_mul_lo_u32 v6, v6, s15
	v_add_u32_e32 v19, v18, v19
	v_add3_u32 v15, v17, v15, v6
	v_add_u32_e32 v4, 32, v4
	s_cbranch_scc0 .LBB1_30
; %bb.29:                               ;   in Loop: Header=BB1_20 Depth=1
	v_mov_b32_e32 v6, v8
	v_mov_b32_e32 v17, v9
	v_mov_b32_e32 v18, v20
	s_branch .LBB1_20
.LBB1_30:
	v_readfirstlane_b32 s2, v11
	v_and_b32_e32 v4, 28, v10
	v_lshlrev_b32_e32 v6, 2, v4
	v_lshlrev_b32_e32 v8, 4, v7
	v_add_lshl_u32 v4, s2, v4, 7
	v_add3_u32 v4, v6, v8, v4
	ds_write_b128 v4, v[0:3] offset:284
	; sched_barrier mask(0x00000000)
	v_and_b32_e32 v0, 3, v5
	v_and_or_b32 v0, v7, 12, v0
	v_bfe_u32 v1, v5, 2, 3
	v_lshlrev_b32_e32 v0, 2, v0
	v_mul_u32_u24_e32 v1, 0x210, v1
	s_lshl_b32 s0, s2, 5
	v_add3_u32 v2, v0, v1, s0
	s_waitcnt lgkmcnt(0)
	s_barrier
	ds_read2_b32 v[0:1], v2 offset0:135 offset1:167
	ds_read2_b32 v[2:3], v2 offset0:71 offset1:103
	s_mul_i32 s0, s16, s4
	s_add_i32 s3, s0, s13
	s_mul_hi_i32 s1, s19, s7
	s_mul_i32 s0, s19, s7
	s_lshl_b64 s[0:1], s[0:1], 1
	s_add_u32 s4, s10, s0
	s_addc_u32 s5, s11, s1
	s_mul_hi_i32 s1, s9, s8
	s_mul_i32 s0, s9, s8
	s_waitcnt lgkmcnt(0)
	v_add_f32_e32 v2, 0, v2
	s_lshl_b64 s[0:1], s[0:1], 1
	v_add_f32_e32 v2, v3, v2
	s_add_u32 s0, s4, s0
	v_add_f32_e32 v0, v0, v2
	s_addc_u32 s1, s5, s1
	v_add_f32_e32 v0, v1, v0
	s_lshl_b32 s2, s2, 1
	v_cvt_f16_f32_e32 v0, v0
	v_lshrrev_b32_e32 v1, 5, v5
	s_add_i32 s2, s2, s33
	v_and_b32_e32 v2, 31, v5
	v_add_u32_e32 v1, s2, v1
	v_add_u32_e32 v2, s6, v2
	v_mul_lo_u32 v1, v1, s16
	s_lshl_b32 s2, s3, 1
	s_mov_b32 s3, 0x20000
	v_add_lshl_u32 v1, v2, v1, 1
	buffer_store_short v0, v1, s[0:3], 0 offen
	s_endpgm
.LBB1_31:
                                        ; implicit-def: $vgpr9
	s_and_saveexec_b64 s[0:1], vcc
	s_xor_b64 s[30:31], exec, s[0:1]
	s_cbranch_execz .LBB1_33
; %bb.32:
	v_sub_f32_e32 v3, v3, v2
	s_mov_b32 s0, 0x3fb8aa3b
	v_mul_f32_e32 v9, 0x3fb8aa3b, v3
	v_fma_f32 v11, v3, s0, -v9
	v_rndne_f32_e32 v9, v9
	v_fmac_f32_e32 v11, 0x32a5705f, v3
	v_mad_f32 v12, v3, s0, -v9
	v_add_f32_e32 v11, v12, v11
	v_exp_f32_e32 v11, v11
	v_cvt_i32_f32_e32 v9, v9
	s_mov_b32 s0, 0xc2ce8ed0
	v_cmp_ngt_f32_e64 s[0:1], s0, v3
	s_mov_b64 s[26:27], exec
	v_ldexp_f32 v9, v11, v9
	v_cndmask_b32_e64 v9, 0, v9, s[0:1]
	s_mov_b32 s0, 0x42b17218
	v_mov_b32_e32 v11, 0x7f800000
	v_cmp_nlt_f32_e64 s[0:1], s0, v3
	v_cndmask_b32_e64 v9, v11, v9, s[0:1]
.LBB1_33:
	s_or_b64 exec, exec, s[30:31]
	s_and_b64 s[26:27], s[26:27], exec
	s_andn2_saveexec_b64 s[0:1], s[4:5]
	s_cbranch_execz .LBB1_16
.LBB1_34:
	s_andn2_b64 s[4:5], s[26:27], exec
	s_and_b64 s[26:27], vcc, exec
	v_mov_b32_e32 v9, 0
	s_or_b64 s[26:27], s[4:5], s[26:27]
	s_or_b64 exec, exec, s[0:1]
	s_and_saveexec_b64 s[0:1], s[26:27]
	s_cbranch_execnz .LBB1_17
	s_branch .LBB1_18
.LBB1_35:
                                        ; implicit-def: $vgpr4_vgpr5
	s_branch .LBB1_6
.LBB1_36:
                                        ; implicit-def: $vgpr6_vgpr7
	s_branch .LBB1_9
	.section	.rodata,"a",@progbits
	.p2align	6, 0x0
	.amdhsa_kernel _ZN7ck_tile6kentryINS_6gfx9_tELi3ENS_27FmhaFwdSplitKVCombineKernelINS_34BlockFmhaFwdSplitKVCombinePipelineINS_38BlockFmhaSplitKVCombinePipelineProblemIffDF16_Li128ELb0ELi32ENS_31TileFmhaFwdSplitKVCombineTraitsILb0ELb0ELb1ELb0ELi3ELin1EEEEENS_47BlockFmhaFwdSplitKVCombinePipelineDefaultPolicyEEENS_17Default2DEpilogueINS_24Default2DEpilogueProblemIfDF16_Lb0ELb0ELb1EEEvEEEEJNSE_14BatchModeKargsEEEENSt9enable_ifIXnt26kattr_no_packed_fp32_ops_vIT_EEvE4typeEDpT2_
		.amdhsa_group_segment_fixed_size 4492
		.amdhsa_private_segment_fixed_size 0
		.amdhsa_kernarg_size 104
		.amdhsa_user_sgpr_count 6
		.amdhsa_user_sgpr_private_segment_buffer 1
		.amdhsa_user_sgpr_dispatch_ptr 0
		.amdhsa_user_sgpr_queue_ptr 0
		.amdhsa_user_sgpr_kernarg_segment_ptr 1
		.amdhsa_user_sgpr_dispatch_id 0
		.amdhsa_user_sgpr_flat_scratch_init 0
		.amdhsa_user_sgpr_kernarg_preload_length 0
		.amdhsa_user_sgpr_kernarg_preload_offset 0
		.amdhsa_user_sgpr_private_segment_size 0
		.amdhsa_uses_dynamic_stack 0
		.amdhsa_system_sgpr_private_segment_wavefront_offset 0
		.amdhsa_system_sgpr_workgroup_id_x 1
		.amdhsa_system_sgpr_workgroup_id_y 1
		.amdhsa_system_sgpr_workgroup_id_z 1
		.amdhsa_system_sgpr_workgroup_info 0
		.amdhsa_system_vgpr_workitem_id 0
		.amdhsa_next_free_vgpr 23
		.amdhsa_next_free_sgpr 48
		.amdhsa_accum_offset 24
		.amdhsa_reserve_vcc 1
		.amdhsa_reserve_flat_scratch 0
		.amdhsa_float_round_mode_32 0
		.amdhsa_float_round_mode_16_64 0
		.amdhsa_float_denorm_mode_32 0
		.amdhsa_float_denorm_mode_16_64 3
		.amdhsa_dx10_clamp 1
		.amdhsa_ieee_mode 1
		.amdhsa_fp16_overflow 0
		.amdhsa_tg_split 0
		.amdhsa_exception_fp_ieee_invalid_op 0
		.amdhsa_exception_fp_denorm_src 0
		.amdhsa_exception_fp_ieee_div_zero 0
		.amdhsa_exception_fp_ieee_overflow 0
		.amdhsa_exception_fp_ieee_underflow 0
		.amdhsa_exception_fp_ieee_inexact 0
		.amdhsa_exception_int_div_zero 0
	.end_amdhsa_kernel
	.section	.text._ZN7ck_tile6kentryINS_6gfx9_tELi3ENS_27FmhaFwdSplitKVCombineKernelINS_34BlockFmhaFwdSplitKVCombinePipelineINS_38BlockFmhaSplitKVCombinePipelineProblemIffDF16_Li128ELb0ELi32ENS_31TileFmhaFwdSplitKVCombineTraitsILb0ELb0ELb1ELb0ELi3ELin1EEEEENS_47BlockFmhaFwdSplitKVCombinePipelineDefaultPolicyEEENS_17Default2DEpilogueINS_24Default2DEpilogueProblemIfDF16_Lb0ELb0ELb1EEEvEEEEJNSE_14BatchModeKargsEEEENSt9enable_ifIXnt26kattr_no_packed_fp32_ops_vIT_EEvE4typeEDpT2_,"axG",@progbits,_ZN7ck_tile6kentryINS_6gfx9_tELi3ENS_27FmhaFwdSplitKVCombineKernelINS_34BlockFmhaFwdSplitKVCombinePipelineINS_38BlockFmhaSplitKVCombinePipelineProblemIffDF16_Li128ELb0ELi32ENS_31TileFmhaFwdSplitKVCombineTraitsILb0ELb0ELb1ELb0ELi3ELin1EEEEENS_47BlockFmhaFwdSplitKVCombinePipelineDefaultPolicyEEENS_17Default2DEpilogueINS_24Default2DEpilogueProblemIfDF16_Lb0ELb0ELb1EEEvEEEEJNSE_14BatchModeKargsEEEENSt9enable_ifIXnt26kattr_no_packed_fp32_ops_vIT_EEvE4typeEDpT2_,comdat
.Lfunc_end1:
	.size	_ZN7ck_tile6kentryINS_6gfx9_tELi3ENS_27FmhaFwdSplitKVCombineKernelINS_34BlockFmhaFwdSplitKVCombinePipelineINS_38BlockFmhaSplitKVCombinePipelineProblemIffDF16_Li128ELb0ELi32ENS_31TileFmhaFwdSplitKVCombineTraitsILb0ELb0ELb1ELb0ELi3ELin1EEEEENS_47BlockFmhaFwdSplitKVCombinePipelineDefaultPolicyEEENS_17Default2DEpilogueINS_24Default2DEpilogueProblemIfDF16_Lb0ELb0ELb1EEEvEEEEJNSE_14BatchModeKargsEEEENSt9enable_ifIXnt26kattr_no_packed_fp32_ops_vIT_EEvE4typeEDpT2_, .Lfunc_end1-_ZN7ck_tile6kentryINS_6gfx9_tELi3ENS_27FmhaFwdSplitKVCombineKernelINS_34BlockFmhaFwdSplitKVCombinePipelineINS_38BlockFmhaSplitKVCombinePipelineProblemIffDF16_Li128ELb0ELi32ENS_31TileFmhaFwdSplitKVCombineTraitsILb0ELb0ELb1ELb0ELi3ELin1EEEEENS_47BlockFmhaFwdSplitKVCombinePipelineDefaultPolicyEEENS_17Default2DEpilogueINS_24Default2DEpilogueProblemIfDF16_Lb0ELb0ELb1EEEvEEEEJNSE_14BatchModeKargsEEEENSt9enable_ifIXnt26kattr_no_packed_fp32_ops_vIT_EEvE4typeEDpT2_
                                        ; -- End function
	.section	.AMDGPU.csdata,"",@progbits
; Kernel info:
; codeLenInByte = 3140
; NumSgprs: 52
; NumVgprs: 23
; NumAgprs: 0
; TotalNumVgprs: 23
; ScratchSize: 0
; MemoryBound: 0
; FloatMode: 192
; IeeeMode: 1
; LDSByteSize: 4492 bytes/workgroup (compile time only)
; SGPRBlocks: 6
; VGPRBlocks: 2
; NumSGPRsForWavesPerEU: 52
; NumVGPRsForWavesPerEU: 23
; AccumOffset: 24
; Occupancy: 8
; WaveLimiterHint : 0
; COMPUTE_PGM_RSRC2:SCRATCH_EN: 0
; COMPUTE_PGM_RSRC2:USER_SGPR: 6
; COMPUTE_PGM_RSRC2:TRAP_HANDLER: 0
; COMPUTE_PGM_RSRC2:TGID_X_EN: 1
; COMPUTE_PGM_RSRC2:TGID_Y_EN: 1
; COMPUTE_PGM_RSRC2:TGID_Z_EN: 1
; COMPUTE_PGM_RSRC2:TIDIG_COMP_CNT: 0
; COMPUTE_PGM_RSRC3_GFX90A:ACCUM_OFFSET: 5
; COMPUTE_PGM_RSRC3_GFX90A:TG_SPLIT: 0
	.section	.text._ZN7ck_tile6kentryINS_6gfx9_tELi3ENS_27FmhaFwdSplitKVCombineKernelINS_34BlockFmhaFwdSplitKVCombinePipelineINS_38BlockFmhaSplitKVCombinePipelineProblemIffDF16_Li128ELb0ELi32ENS_31TileFmhaFwdSplitKVCombineTraitsILb0ELb0ELb1ELb0ELi4ELin1EEEEENS_47BlockFmhaFwdSplitKVCombinePipelineDefaultPolicyEEENS_17Default2DEpilogueINS_24Default2DEpilogueProblemIfDF16_Lb0ELb0ELb1EEEvEEEEJNSE_14BatchModeKargsEEEENSt9enable_ifIXnt26kattr_no_packed_fp32_ops_vIT_EEvE4typeEDpT2_,"axG",@progbits,_ZN7ck_tile6kentryINS_6gfx9_tELi3ENS_27FmhaFwdSplitKVCombineKernelINS_34BlockFmhaFwdSplitKVCombinePipelineINS_38BlockFmhaSplitKVCombinePipelineProblemIffDF16_Li128ELb0ELi32ENS_31TileFmhaFwdSplitKVCombineTraitsILb0ELb0ELb1ELb0ELi4ELin1EEEEENS_47BlockFmhaFwdSplitKVCombinePipelineDefaultPolicyEEENS_17Default2DEpilogueINS_24Default2DEpilogueProblemIfDF16_Lb0ELb0ELb1EEEvEEEEJNSE_14BatchModeKargsEEEENSt9enable_ifIXnt26kattr_no_packed_fp32_ops_vIT_EEvE4typeEDpT2_,comdat
	.protected	_ZN7ck_tile6kentryINS_6gfx9_tELi3ENS_27FmhaFwdSplitKVCombineKernelINS_34BlockFmhaFwdSplitKVCombinePipelineINS_38BlockFmhaSplitKVCombinePipelineProblemIffDF16_Li128ELb0ELi32ENS_31TileFmhaFwdSplitKVCombineTraitsILb0ELb0ELb1ELb0ELi4ELin1EEEEENS_47BlockFmhaFwdSplitKVCombinePipelineDefaultPolicyEEENS_17Default2DEpilogueINS_24Default2DEpilogueProblemIfDF16_Lb0ELb0ELb1EEEvEEEEJNSE_14BatchModeKargsEEEENSt9enable_ifIXnt26kattr_no_packed_fp32_ops_vIT_EEvE4typeEDpT2_ ; -- Begin function _ZN7ck_tile6kentryINS_6gfx9_tELi3ENS_27FmhaFwdSplitKVCombineKernelINS_34BlockFmhaFwdSplitKVCombinePipelineINS_38BlockFmhaSplitKVCombinePipelineProblemIffDF16_Li128ELb0ELi32ENS_31TileFmhaFwdSplitKVCombineTraitsILb0ELb0ELb1ELb0ELi4ELin1EEEEENS_47BlockFmhaFwdSplitKVCombinePipelineDefaultPolicyEEENS_17Default2DEpilogueINS_24Default2DEpilogueProblemIfDF16_Lb0ELb0ELb1EEEvEEEEJNSE_14BatchModeKargsEEEENSt9enable_ifIXnt26kattr_no_packed_fp32_ops_vIT_EEvE4typeEDpT2_
	.globl	_ZN7ck_tile6kentryINS_6gfx9_tELi3ENS_27FmhaFwdSplitKVCombineKernelINS_34BlockFmhaFwdSplitKVCombinePipelineINS_38BlockFmhaSplitKVCombinePipelineProblemIffDF16_Li128ELb0ELi32ENS_31TileFmhaFwdSplitKVCombineTraitsILb0ELb0ELb1ELb0ELi4ELin1EEEEENS_47BlockFmhaFwdSplitKVCombinePipelineDefaultPolicyEEENS_17Default2DEpilogueINS_24Default2DEpilogueProblemIfDF16_Lb0ELb0ELb1EEEvEEEEJNSE_14BatchModeKargsEEEENSt9enable_ifIXnt26kattr_no_packed_fp32_ops_vIT_EEvE4typeEDpT2_
	.p2align	8
	.type	_ZN7ck_tile6kentryINS_6gfx9_tELi3ENS_27FmhaFwdSplitKVCombineKernelINS_34BlockFmhaFwdSplitKVCombinePipelineINS_38BlockFmhaSplitKVCombinePipelineProblemIffDF16_Li128ELb0ELi32ENS_31TileFmhaFwdSplitKVCombineTraitsILb0ELb0ELb1ELb0ELi4ELin1EEEEENS_47BlockFmhaFwdSplitKVCombinePipelineDefaultPolicyEEENS_17Default2DEpilogueINS_24Default2DEpilogueProblemIfDF16_Lb0ELb0ELb1EEEvEEEEJNSE_14BatchModeKargsEEEENSt9enable_ifIXnt26kattr_no_packed_fp32_ops_vIT_EEvE4typeEDpT2_,@function
_ZN7ck_tile6kentryINS_6gfx9_tELi3ENS_27FmhaFwdSplitKVCombineKernelINS_34BlockFmhaFwdSplitKVCombinePipelineINS_38BlockFmhaSplitKVCombinePipelineProblemIffDF16_Li128ELb0ELi32ENS_31TileFmhaFwdSplitKVCombineTraitsILb0ELb0ELb1ELb0ELi4ELin1EEEEENS_47BlockFmhaFwdSplitKVCombinePipelineDefaultPolicyEEENS_17Default2DEpilogueINS_24Default2DEpilogueProblemIfDF16_Lb0ELb0ELb1EEEvEEEEJNSE_14BatchModeKargsEEEENSt9enable_ifIXnt26kattr_no_packed_fp32_ops_vIT_EEvE4typeEDpT2_: ; @_ZN7ck_tile6kentryINS_6gfx9_tELi3ENS_27FmhaFwdSplitKVCombineKernelINS_34BlockFmhaFwdSplitKVCombinePipelineINS_38BlockFmhaSplitKVCombinePipelineProblemIffDF16_Li128ELb0ELi32ENS_31TileFmhaFwdSplitKVCombineTraitsILb0ELb0ELb1ELb0ELi4ELin1EEEEENS_47BlockFmhaFwdSplitKVCombinePipelineDefaultPolicyEEENS_17Default2DEpilogueINS_24Default2DEpilogueProblemIfDF16_Lb0ELb0ELb1EEEvEEEEJNSE_14BatchModeKargsEEEENSt9enable_ifIXnt26kattr_no_packed_fp32_ops_vIT_EEvE4typeEDpT2_
; %bb.0:
	s_load_dwordx8 s[12:19], s[4:5], 0x1c
	s_load_dwordx4 s[20:23], s[4:5], 0x0
	s_load_dwordx2 s[10:11], s[4:5], 0x10
	s_load_dwordx2 s[28:29], s[4:5], 0x3c
	;; [unrolled: 1-line block ×3, first 2 shown]
	s_load_dword s9, s[4:5], 0x60
	s_load_dwordx4 s[24:27], s[4:5], 0x50
	s_ashr_i32 s2, s6, 31
	s_mov_b32 s38, -1
	s_waitcnt lgkmcnt(0)
	s_add_i32 s0, s13, 31
	s_ashr_i32 s1, s0, 31
	s_lshr_b32 s1, s1, 27
	s_add_i32 s3, s0, s1
	s_ashr_i32 s0, s3, 5
	s_abs_i32 s1, s0
	v_cvt_f32_u32_e32 v1, s1
	s_sub_i32 s5, 0, s1
	s_ashr_i32 s4, s3, 31
	s_abs_i32 s3, s6
	v_rcp_iflag_f32_e32 v1, v1
	s_add_i32 s41, s14, 3
	v_mul_f32_e32 v1, 0x4f7ffffe, v1
	v_cvt_u32_f32_e32 v1, v1
	v_readfirstlane_b32 s33, v1
	s_mul_i32 s5, s5, s33
	s_mul_hi_u32 s5, s33, s5
	s_add_i32 s33, s33, s5
	s_getpc_b64 s[34:35]
	s_add_u32 s34, s34, _ZN7ck_tile34BlockFmhaFwdSplitKVCombinePipelineINS_38BlockFmhaSplitKVCombinePipelineProblemIffDF16_Li128ELb0ELi32ENS_31TileFmhaFwdSplitKVCombineTraitsILb0ELb0ELb1ELb0ELi4ELin1EEEEENS_47BlockFmhaFwdSplitKVCombinePipelineDefaultPolicyEE3kM0E@rel32@lo+4
	s_addc_u32 s35, s35, _ZN7ck_tile34BlockFmhaFwdSplitKVCombinePipelineINS_38BlockFmhaSplitKVCombinePipelineProblemIffDF16_Li128ELb0ELi32ENS_31TileFmhaFwdSplitKVCombineTraitsILb0ELb0ELb1ELb0ELi4ELin1EEEEENS_47BlockFmhaFwdSplitKVCombinePipelineDefaultPolicyEE3kM0E@rel32@hi+12
	s_load_dword s36, s[34:35], 0x0
	s_mul_hi_u32 s5, s3, s33
	s_ashr_i32 s33, s41, 31
	s_lshr_b32 s33, s33, 30
	s_add_i32 s33, s41, s33
	s_ashr_i32 s40, s33, 2
	s_and_b32 s37, s33, -4
.LBB2_1:                                ; =>This Inner Loop Header: Depth=1
	s_add_i32 s38, s38, 1
	s_lshl_b32 s33, 1, s38
	s_cmp_lt_u32 s33, s37
	s_cbranch_scc1 .LBB2_1
; %bb.2:
	s_mov_b32 s39, -1
.LBB2_3:                                ; =>This Inner Loop Header: Depth=1
	s_add_i32 s39, s39, 1
	s_lshl_b32 s33, 1, s39
	s_waitcnt lgkmcnt(0)
	s_cmp_lt_u32 s33, s36
	s_cbranch_scc1 .LBB2_3
; %bb.4:
	s_xor_b32 s2, s2, s4
	s_mul_i32 s4, s5, s1
	s_sub_i32 s3, s3, s4
	s_add_i32 s4, s5, 1
	s_sub_i32 s33, s3, s1
	s_cmp_ge_u32 s3, s1
	s_cselect_b32 s4, s4, s5
	s_cselect_b32 s3, s33, s3
	s_add_i32 s5, s4, 1
	s_cmp_ge_u32 s3, s1
	s_cselect_b32 s1, s5, s4
	s_xor_b32 s1, s1, s2
	s_sub_i32 s42, s1, s2
	s_mul_i32 s0, s42, s0
	s_sub_i32 s0, s6, s0
	s_lshl_b32 s6, s0, 5
	s_lshl_b64 s[0:1], 1, s38
	s_lshl_b32 s33, s42, 3
	s_mov_b32 s2, 0
	s_sub_i32 s3, s0, s37
	s_cmp_lg_u64 s[2:3], 0
	s_cbranch_scc0 .LBB2_41
; %bb.5:
	v_cvt_f32_u32_e32 v1, s37
	v_mov_b32_e32 v2, 0x4f800000
	s_sub_u32 s2, 0, s37
	s_subb_u32 s4, 0, 0
	v_mac_f32_e32 v1, 0, v2
	v_rcp_f32_e32 v1, v1
	v_mul_f32_e32 v1, 0x5f7ffffc, v1
	v_mul_f32_e32 v2, 0x2f800000, v1
	v_trunc_f32_e32 v2, v2
	v_madmk_f32 v1, v2, 0xcf800000, v1
	v_cvt_u32_f32_e32 v2, v2
	v_cvt_u32_f32_e32 v1, v1
	v_readfirstlane_b32 s5, v2
	v_readfirstlane_b32 s34, v1
	s_mul_i32 s35, s2, s5
	s_mul_hi_u32 s44, s2, s34
	s_mul_i32 s43, s4, s34
	s_add_i32 s35, s44, s35
	s_add_i32 s35, s35, s43
	s_mul_i32 s45, s2, s34
	s_mul_hi_u32 s43, s34, s35
	s_mul_i32 s44, s34, s35
	s_mul_hi_u32 s34, s34, s45
	s_add_u32 s34, s34, s44
	s_addc_u32 s43, 0, s43
	s_mul_hi_u32 s46, s5, s45
	s_mul_i32 s45, s5, s45
	s_add_u32 s34, s34, s45
	s_mul_hi_u32 s44, s5, s35
	s_addc_u32 s34, s43, s46
	s_addc_u32 s43, s44, 0
	s_mul_i32 s35, s5, s35
	s_add_u32 s34, s34, s35
	s_addc_u32 s35, 0, s43
	v_add_co_u32_e32 v1, vcc, s34, v1
	s_cmp_lg_u64 vcc, 0
	s_addc_u32 s5, s5, s35
	v_readfirstlane_b32 s35, v1
	s_mul_i32 s34, s2, s5
	s_mul_hi_u32 s43, s2, s35
	s_add_i32 s34, s43, s34
	s_mul_i32 s4, s4, s35
	s_add_i32 s34, s34, s4
	s_mul_i32 s2, s2, s35
	s_mul_hi_u32 s43, s5, s2
	s_mul_i32 s44, s5, s2
	s_mul_i32 s46, s35, s34
	s_mul_hi_u32 s2, s35, s2
	s_mul_hi_u32 s45, s35, s34
	s_add_u32 s2, s2, s46
	s_addc_u32 s35, 0, s45
	s_add_u32 s2, s2, s44
	s_mul_hi_u32 s4, s5, s34
	s_addc_u32 s2, s35, s43
	s_addc_u32 s4, s4, 0
	s_mul_i32 s34, s5, s34
	s_add_u32 s2, s2, s34
	s_addc_u32 s4, 0, s4
	v_add_co_u32_e32 v1, vcc, s2, v1
	s_cmp_lg_u64 vcc, 0
	s_addc_u32 s2, s5, s4
	v_readfirstlane_b32 s34, v1
	s_mul_i32 s5, s2, 0
	s_mul_hi_u32 s35, 0, s34
	s_mul_hi_u32 s4, 0, s2
	s_add_u32 s5, s35, s5
	s_addc_u32 s4, 0, s4
	s_mul_hi_u32 s43, s3, s34
	s_mul_i32 s34, s3, s34
	s_add_u32 s5, s5, s34
	s_mul_hi_u32 s35, s3, s2
	s_addc_u32 s4, s4, s43
	s_addc_u32 s5, s35, 0
	s_mul_i32 s2, s3, s2
	s_add_u32 s2, s4, s2
	s_addc_u32 s4, 0, s5
	s_mul_i32 s4, s37, s4
	s_mul_hi_u32 s5, s37, s2
	s_add_i32 s43, s5, s4
	s_mul_i32 s4, s37, s2
	s_add_u32 s34, s2, 1
	s_add_u32 s35, s2, 2
	v_sub_co_u32_e64 v1, s[4:5], 0, s4
	s_cmp_lg_u64 s[4:5], 0
	s_subb_u32 s3, s3, s43
	v_subrev_co_u32_e32 v2, vcc, s37, v1
	s_cmp_lg_u64 vcc, 0
	s_subb_u32 s4, s3, 0
	v_cmp_le_u32_e32 vcc, s37, v2
	s_cmp_eq_u32 s4, 0
	v_cndmask_b32_e64 v2, 0, -1, vcc
	s_cselect_b64 vcc, -1, 0
	v_cndmask_b32_e32 v2, -1, v2, vcc
	v_mov_b32_e32 v3, s34
	v_mov_b32_e32 v4, s35
	v_cmp_ne_u32_e32 vcc, 0, v2
	v_cndmask_b32_e32 v2, v3, v4, vcc
	v_cmp_le_u32_e32 vcc, s37, v1
	s_cmp_eq_u32 s3, 0
	v_cndmask_b32_e64 v1, 0, -1, vcc
	s_cselect_b64 vcc, -1, 0
	v_cndmask_b32_e32 v1, -1, v1, vcc
	v_mov_b32_e32 v3, s2
	v_cmp_ne_u32_e32 vcc, 0, v1
	v_cndmask_b32_e32 v4, v3, v2, vcc
	s_cbranch_execnz .LBB2_7
.LBB2_6:
	v_cvt_f32_u32_e32 v1, s37
	s_sub_i32 s0, 0, s37
	s_mov_b32 s1, 0
	v_rcp_iflag_f32_e32 v1, v1
	v_mul_f32_e32 v1, 0x4f7ffffe, v1
	v_cvt_u32_f32_e32 v1, v1
	v_readfirstlane_b32 s2, v1
	s_mul_i32 s0, s0, s2
	s_mul_hi_u32 s0, s2, s0
	s_add_i32 s2, s2, s0
	s_mul_hi_u32 s0, 0, s2
	s_mul_i32 s3, s0, s37
	s_sub_i32 s3, 0, s3
	s_add_i32 s2, s0, 1
	s_sub_i32 s4, s3, s37
	s_cmp_ge_u32 s3, s37
	s_cselect_b32 s0, s2, s0
	s_cselect_b32 s3, s4, s3
	s_add_i32 s2, s0, 1
	s_cmp_ge_u32 s3, s37
	s_cselect_b32 s0, s2, s0
	v_pk_mov_b32 v[4:5], s[0:1], s[0:1] op_sel:[0,1]
.LBB2_7:
	s_lshl_b64 s[0:1], 1, s39
	s_mov_b32 s2, 0
	s_sub_i32 s3, s0, s36
	s_cmp_lg_u64 s[2:3], 0
	s_cbranch_scc0 .LBB2_42
; %bb.8:
	v_cvt_f32_u32_e32 v1, s36
	v_mov_b32_e32 v2, 0x4f800000
	s_sub_u32 s2, 0, s36
	s_subb_u32 s4, 0, 0
	v_mac_f32_e32 v1, 0, v2
	v_rcp_f32_e32 v1, v1
	v_mul_f32_e32 v1, 0x5f7ffffc, v1
	v_mul_f32_e32 v2, 0x2f800000, v1
	v_trunc_f32_e32 v2, v2
	v_madmk_f32 v1, v2, 0xcf800000, v1
	v_cvt_u32_f32_e32 v2, v2
	v_cvt_u32_f32_e32 v1, v1
	v_readfirstlane_b32 s5, v2
	v_readfirstlane_b32 s34, v1
	s_mul_i32 s35, s2, s5
	s_mul_hi_u32 s44, s2, s34
	s_mul_i32 s43, s4, s34
	s_add_i32 s35, s44, s35
	s_add_i32 s35, s35, s43
	s_mul_i32 s45, s2, s34
	s_mul_hi_u32 s43, s34, s35
	s_mul_i32 s44, s34, s35
	s_mul_hi_u32 s34, s34, s45
	s_add_u32 s34, s34, s44
	s_addc_u32 s43, 0, s43
	s_mul_hi_u32 s46, s5, s45
	s_mul_i32 s45, s5, s45
	s_add_u32 s34, s34, s45
	s_mul_hi_u32 s44, s5, s35
	s_addc_u32 s34, s43, s46
	s_addc_u32 s43, s44, 0
	s_mul_i32 s35, s5, s35
	s_add_u32 s34, s34, s35
	s_addc_u32 s35, 0, s43
	v_add_co_u32_e32 v1, vcc, s34, v1
	s_cmp_lg_u64 vcc, 0
	s_addc_u32 s5, s5, s35
	v_readfirstlane_b32 s35, v1
	s_mul_i32 s34, s2, s5
	s_mul_hi_u32 s43, s2, s35
	s_add_i32 s34, s43, s34
	s_mul_i32 s4, s4, s35
	s_add_i32 s34, s34, s4
	s_mul_i32 s2, s2, s35
	s_mul_hi_u32 s43, s5, s2
	s_mul_i32 s44, s5, s2
	s_mul_i32 s46, s35, s34
	s_mul_hi_u32 s2, s35, s2
	s_mul_hi_u32 s45, s35, s34
	s_add_u32 s2, s2, s46
	s_addc_u32 s35, 0, s45
	s_add_u32 s2, s2, s44
	s_mul_hi_u32 s4, s5, s34
	s_addc_u32 s2, s35, s43
	s_addc_u32 s4, s4, 0
	s_mul_i32 s34, s5, s34
	s_add_u32 s2, s2, s34
	s_addc_u32 s4, 0, s4
	v_add_co_u32_e32 v1, vcc, s2, v1
	s_cmp_lg_u64 vcc, 0
	s_addc_u32 s2, s5, s4
	v_readfirstlane_b32 s34, v1
	s_mul_i32 s5, s2, 0
	s_mul_hi_u32 s35, 0, s34
	s_mul_hi_u32 s4, 0, s2
	s_add_u32 s5, s35, s5
	s_addc_u32 s4, 0, s4
	s_mul_hi_u32 s43, s3, s34
	s_mul_i32 s34, s3, s34
	s_add_u32 s5, s5, s34
	s_mul_hi_u32 s35, s3, s2
	s_addc_u32 s4, s4, s43
	s_addc_u32 s5, s35, 0
	s_mul_i32 s2, s3, s2
	s_add_u32 s2, s4, s2
	s_addc_u32 s4, 0, s5
	s_mul_i32 s4, s36, s4
	s_mul_hi_u32 s5, s36, s2
	s_add_i32 s43, s5, s4
	s_mul_i32 s4, s36, s2
	s_add_u32 s34, s2, 1
	s_add_u32 s35, s2, 2
	v_sub_co_u32_e64 v1, s[4:5], 0, s4
	s_cmp_lg_u64 s[4:5], 0
	s_subb_u32 s3, s3, s43
	v_subrev_co_u32_e32 v2, vcc, s36, v1
	s_cmp_lg_u64 vcc, 0
	s_subb_u32 s4, s3, 0
	v_cmp_le_u32_e32 vcc, s36, v2
	s_cmp_eq_u32 s4, 0
	v_cndmask_b32_e64 v2, 0, -1, vcc
	s_cselect_b64 vcc, -1, 0
	v_cndmask_b32_e32 v2, -1, v2, vcc
	v_mov_b32_e32 v3, s34
	v_mov_b32_e32 v5, s35
	v_cmp_ne_u32_e32 vcc, 0, v2
	v_cndmask_b32_e32 v2, v3, v5, vcc
	v_cmp_le_u32_e32 vcc, s36, v1
	s_cmp_eq_u32 s3, 0
	v_cndmask_b32_e64 v1, 0, -1, vcc
	s_cselect_b64 vcc, -1, 0
	v_cndmask_b32_e32 v1, -1, v1, vcc
	v_mov_b32_e32 v3, s2
	v_cmp_ne_u32_e32 vcc, 0, v1
	v_cndmask_b32_e32 v6, v3, v2, vcc
	s_cbranch_execnz .LBB2_10
.LBB2_9:
	v_cvt_f32_u32_e32 v1, s36
	s_sub_i32 s0, 0, s36
	s_mov_b32 s1, 0
	v_rcp_iflag_f32_e32 v1, v1
	v_mul_f32_e32 v1, 0x4f7ffffe, v1
	v_cvt_u32_f32_e32 v1, v1
	v_readfirstlane_b32 s2, v1
	s_mul_i32 s0, s0, s2
	s_mul_hi_u32 s0, s2, s0
	s_add_i32 s2, s2, s0
	s_mul_hi_u32 s0, 0, s2
	s_mul_i32 s3, s0, s36
	s_sub_i32 s3, 0, s3
	s_add_i32 s2, s0, 1
	s_sub_i32 s4, s3, s36
	s_cmp_ge_u32 s3, s36
	s_cselect_b32 s0, s2, s0
	s_cselect_b32 s3, s4, s3
	s_add_i32 s2, s0, 1
	s_cmp_ge_u32 s3, s36
	s_cselect_b32 s0, s2, s0
	v_pk_mov_b32 v[6:7], s[0:1], s[0:1] op_sel:[0,1]
.LBB2_10:
	v_lshrrev_b32_e32 v10, 6, v0
	v_readfirstlane_b32 s0, v10
	v_mbcnt_lo_u32_b32 v0, -1, 0
	v_mbcnt_hi_u32_b32 v5, -1, v0
	s_lshl_b32 s0, s0, 3
	v_lshrrev_b32_e32 v7, 3, v5
	s_and_b32 s0, s0, 8
	v_add_u32_e32 v0, s0, v7
	s_add_i32 s43, s14, -1
	v_and_b32_e32 v8, 7, v5
	v_cmp_gt_i32_e32 vcc, s14, v0
	v_mov_b32_e32 v1, 0
	s_and_saveexec_b64 s[0:1], vcc
	s_cbranch_execz .LBB2_12
; %bb.11:
	s_mul_hi_i32 s5, s17, s7
	s_mul_i32 s4, s17, s7
	s_lshl_b64 s[4:5], s[4:5], 2
	s_mul_hi_i32 s3, s26, s8
	s_mul_i32 s2, s26, s8
	s_add_u32 s4, s20, s4
	s_addc_u32 s5, s21, s5
	s_lshl_b64 s[2:3], s[2:3], 2
	s_add_u32 s44, s4, s2
	s_mul_i32 s2, s28, s43
	s_addc_u32 s45, s5, s3
	s_add_i32 s2, s2, s12
	v_mul_lo_u32 v0, v0, s28
	v_add_u32_e32 v1, s33, v8
	v_add_lshl_u32 v0, v1, v0, 2
	s_lshl_b32 s46, s2, 2
	s_mov_b32 s47, 0x20000
	buffer_load_dword v1, v0, s[44:47], 0 offen
.LBB2_12:
	s_or_b64 exec, exec, s[0:1]
	v_readfirstlane_b32 s0, v10
	s_lshl_b32 s0, s0, 5
	v_mul_u32_u24_e32 v3, 0x44, v8
	v_lshlrev_b32_e32 v0, 2, v7
	s_and_b32 s0, s0, 32
	v_add3_u32 v0, v3, v0, s0
	s_waitcnt vmcnt(0)
	ds_write_b32 v0, v1
	; sched_barrier mask(0x00000000)
	v_lshrrev_b32_e32 v2, 2, v5
	v_and_b32_e32 v9, 30, v2
	v_cmp_gt_i32_e32 vcc, s14, v9
	v_mov_b32_e32 v1, 0xff800000
	v_mov_b32_e32 v0, 0xff800000
	s_waitcnt lgkmcnt(0)
	s_barrier
	s_and_saveexec_b64 s[0:1], vcc
	s_cbranch_execz .LBB2_14
; %bb.13:
	v_lshl_add_u32 v0, v9, 2, v3
	ds_read_b32 v0, v0
.LBB2_14:
	s_or_b64 exec, exec, s[0:1]
	v_or_b32_e32 v2, 1, v2
	v_cmp_gt_i32_e64 s[0:1], s14, v2
	v_lshl_add_u32 v2, v2, 2, v3
	s_and_saveexec_b64 s[2:3], s[0:1]
	s_cbranch_execz .LBB2_16
; %bb.15:
	ds_read_b32 v1, v2
.LBB2_16:
	s_or_b64 exec, exec, s[2:3]
	s_mov_b32 s4, 0xff800000
	s_waitcnt lgkmcnt(0)
	v_max3_f32 v12, v0, s4, v1
	v_lshlrev_b32_e32 v11, 2, v5
	ds_bpermute_b32 v13, v11, v12 offset:128
	s_mov_b32 s2, 0x3fb8aa3b
	s_mov_b32 s5, 0xc2ce8ed0
	;; [unrolled: 1-line block ×3, first 2 shown]
	s_mov_b64 s[20:21], 0
	s_waitcnt lgkmcnt(0)
	v_max_f32_e32 v13, v13, v13
	v_max_f32_e32 v12, v12, v13
	ds_bpermute_b32 v13, v11, v12 offset:64
	s_waitcnt lgkmcnt(0)
	s_barrier
	v_max_f32_e32 v13, v13, v13
	v_max_f32_e32 v12, v12, v13
	ds_bpermute_b32 v13, v11, v12 offset:32
	s_waitcnt lgkmcnt(0)
	v_max_f32_e32 v13, v13, v13
	v_max_f32_e32 v12, v12, v13
	v_pk_add_f32 v[14:15], v[0:1], v[12:13] op_sel_hi:[1,0] neg_lo:[0,1] neg_hi:[0,1]
	v_mul_f32_e32 v13, 0x3fb8aa3b, v15
	v_fma_f32 v17, v15, s2, -v13
	v_rndne_f32_e32 v13, v13
	v_mul_f32_e32 v16, 0x3fb8aa3b, v14
	v_fmac_f32_e32 v17, 0x32a5705f, v15
	v_mad_f32 v19, v15, s2, -v13
	v_fma_f32 v18, v14, s2, -v16
	v_rndne_f32_e32 v16, v16
	v_add_f32_e32 v17, v19, v17
	v_cvt_i32_f32_e32 v13, v13
	v_fmac_f32_e32 v18, 0x32a5705f, v14
	v_exp_f32_e32 v17, v17
	v_mad_f32 v19, v14, s2, -v16
	v_add_f32_e32 v18, v19, v18
	v_exp_f32_e32 v18, v18
	v_cvt_i32_f32_e32 v16, v16
	v_ldexp_f32 v13, v17, v13
	v_cmp_ngt_f32_e64 s[2:3], s5, v15
	v_cndmask_b32_e64 v13, 0, v13, s[2:3]
	v_mov_b32_e32 v17, 0x7f800000
	v_cmp_nlt_f32_e64 s[2:3], s17, v15
	v_cndmask_b32_e64 v13, v17, v13, s[2:3]
	v_ldexp_f32 v15, v18, v16
	v_cmp_ngt_f32_e64 s[2:3], s5, v14
	v_cndmask_b32_e64 v15, 0, v15, s[2:3]
	v_cmp_nlt_f32_e64 s[2:3], s17, v14
	v_cndmask_b32_e64 v14, v17, v15, s[2:3]
	v_add_f32_e32 v13, v14, v13
	v_cmp_neq_f32_e64 s[2:3], s4, v12
	v_cndmask_b32_e64 v13, 0, v13, s[2:3]
	ds_bpermute_b32 v14, v11, v13 offset:128
	s_mov_b32 s3, 0x3f317217
	s_mov_b32 s2, 0x7f800000
	v_mov_b32_e32 v15, 0xff800000
	s_waitcnt lgkmcnt(0)
	v_add_f32_e32 v13, v13, v14
	ds_bpermute_b32 v14, v11, v13 offset:64
	s_waitcnt lgkmcnt(0)
	v_add_f32_e32 v13, v13, v14
	ds_bpermute_b32 v14, v11, v13 offset:32
	s_waitcnt lgkmcnt(0)
	v_add_f32_e32 v13, v13, v14
	v_log_f32_e32 v14, v13
	v_mul_f32_e32 v16, 0x3f317217, v14
	v_fma_f32 v16, v14, s3, -v16
	v_fmac_f32_e32 v16, 0x3377d1cf, v14
	v_mac_f32_e32 v16, 0x3f317217, v14
	v_cmp_lt_f32_e64 s[2:3], |v14|, s2
	v_cndmask_b32_e64 v14, v14, v16, s[2:3]
	v_add_f32_e32 v12, v12, v14
	v_cmp_neq_f32_e64 s[2:3], 0, v13
	v_cndmask_b32_e64 v12, v15, v12, s[2:3]
	v_cmp_neq_f32_e64 s[2:3], s4, v12
                                        ; implicit-def: $vgpr13
	s_and_saveexec_b64 s[4:5], s[2:3]
	s_xor_b64 s[4:5], exec, s[4:5]
	s_cbranch_execnz .LBB2_33
; %bb.17:
	s_andn2_saveexec_b64 s[2:3], s[4:5]
	s_cbranch_execnz .LBB2_38
.LBB2_18:
	s_or_b64 exec, exec, s[2:3]
	s_and_saveexec_b64 s[0:1], s[20:21]
	s_cbranch_execz .LBB2_20
.LBB2_19:
	ds_write_b32 v2, v13
.LBB2_20:
	s_or_b64 exec, exec, s[0:1]
	s_mul_hi_i32 s3, s24, s7
	s_mul_i32 s2, s24, s7
	s_lshl_b64 s[2:3], s[2:3], 2
	s_mul_hi_i32 s1, s25, s8
	s_mul_i32 s0, s25, s8
	s_add_u32 s2, s30, s2
	s_addc_u32 s3, s31, s3
	s_lshl_b64 s[0:1], s[0:1], 2
	s_add_u32 s0, s2, s0
	s_addc_u32 s1, s3, s1
	s_lshl_b32 s2, s12, 2
	s_mov_b32 s3, 0x20000
	v_add_lshl_u32 v0, v8, s33, 2
	s_add_i32 s17, s12, -1
	buffer_store_dword v12, v0, s[0:3], 0 offen
	v_readfirstlane_b32 s2, v10
	; sched_barrier mask(0x00000000)
	s_mov_b32 s12, 0
	s_cmp_lt_i32 s41, 4
	v_mov_b32_e32 v3, 0
	v_mov_b32_e32 v2, 0
	;; [unrolled: 1-line block ×4, first 2 shown]
	s_waitcnt lgkmcnt(0)
	s_barrier
	s_cbranch_scc1 .LBB2_32
; %bb.21:
	s_mul_i32 s1, s15, s17
	s_mul_i32 s40, s40, s42
	;; [unrolled: 1-line block ×3, first 2 shown]
	s_add_i32 s1, s1, s13
	s_mul_hi_i32 s5, s18, s7
	s_mul_i32 s4, s18, s7
	s_lshl_b32 s20, s40, 5
	s_add_i32 s21, s1, s0
	s_lshl_b64 s[4:5], s[4:5], 2
	s_mul_hi_i32 s1, s27, s8
	s_mul_i32 s0, s27, s8
	s_add_u32 s4, s22, s4
	s_addc_u32 s5, s23, s5
	s_lshl_b64 s[0:1], s[0:1], 2
	s_add_u32 s0, s4, s0
	s_addc_u32 s1, s5, s1
	s_lshl_b32 s2, s2, 3
	s_add_i32 s2, s2, s20
	v_add_u32_e32 v12, 1, v6
	v_add_u32_e32 v14, s2, v7
	v_mul_hi_u32 v0, v12, v14
	v_add_u32_e32 v0, v14, v0
	v_add_u32_e32 v13, 1, v4
	v_lshrrev_b32_e32 v0, s39, v0
	v_mul_hi_u32 v1, v13, v0
	v_add_u32_e32 v1, v0, v1
	v_lshrrev_b32_e32 v17, s38, v1
	v_mul_lo_u32 v1, v17, s37
	v_sub_u32_e32 v18, v0, v1
	v_mul_lo_u32 v0, v0, s36
	v_sub_u32_e32 v6, v14, v0
	v_mad_u64_u32 v[0:1], s[4:5], v17, s36, v[6:7]
	v_lshl_add_u32 v2, v8, 2, s6
	v_mul_lo_u32 v3, v18, s29
	v_mul_lo_u32 v0, v0, s15
	v_add3_u32 v15, v2, v3, v0
	s_lshl_b32 s2, s21, 2
	v_mul_u32_u24_e32 v16, 0x44, v7
	v_add_u32_e32 v4, 32, v14
	s_sub_i32 s18, 0, s36
	v_mov_b32_e32 v0, 0
	v_mov_b32_e32 v19, v18
	;; [unrolled: 1-line block ×5, first 2 shown]
.LBB2_22:                               ; =>This Inner Loop Header: Depth=1
	v_cmp_gt_i32_e32 vcc, s14, v19
	v_lshlrev_b32_e32 v20, 2, v15
	v_mov_b32_e32 v8, 0
	s_and_saveexec_b64 s[4:5], vcc
	s_cbranch_execz .LBB2_24
; %bb.23:                               ;   in Loop: Header=BB2_22 Depth=1
	buffer_load_dword v8, v20, s[0:3], 0 offen
.LBB2_24:                               ;   in Loop: Header=BB2_22 Depth=1
	s_or_b64 exec, exec, s[4:5]
	v_mov_b32_e32 v9, 0
	s_and_saveexec_b64 s[4:5], vcc
	s_cbranch_execz .LBB2_26
; %bb.25:                               ;   in Loop: Header=BB2_22 Depth=1
	buffer_load_dword v9, v20, s[0:3], 0 offen offset:4
.LBB2_26:                               ;   in Loop: Header=BB2_22 Depth=1
	s_or_b64 exec, exec, s[4:5]
	v_mov_b32_e32 v21, 0
	v_mov_b32_e32 v22, 0
	s_and_saveexec_b64 s[4:5], vcc
	s_cbranch_execz .LBB2_28
; %bb.27:                               ;   in Loop: Header=BB2_22 Depth=1
	buffer_load_dword v22, v20, s[0:3], 0 offen offset:8
.LBB2_28:                               ;   in Loop: Header=BB2_22 Depth=1
	s_or_b64 exec, exec, s[4:5]
	s_and_saveexec_b64 s[4:5], vcc
	s_cbranch_execz .LBB2_30
; %bb.29:                               ;   in Loop: Header=BB2_22 Depth=1
	buffer_load_dword v21, v20, s[0:3], 0 offen offset:12
.LBB2_30:                               ;   in Loop: Header=BB2_22 Depth=1
	s_or_b64 exec, exec, s[4:5]
	v_readfirstlane_b32 s4, v10
	v_lshl_add_u32 v20, s4, 2, v16
	ds_read_b32 v20, v20
	v_add_u32_e32 v14, 32, v14
	s_add_i32 s12, s12, 4
	v_add_u32_e32 v16, 16, v16
	s_cmp_lt_i32 s12, s37
	s_waitcnt vmcnt(0) lgkmcnt(0)
	v_fmac_f32_e32 v0, v8, v20
	v_mul_hi_u32 v8, v12, v4
	v_add_u32_e32 v8, v14, v8
	v_fmac_f32_e32 v3, v21, v20
	v_lshrrev_b32_e32 v21, s39, v8
	v_fmac_f32_e32 v1, v9, v20
	v_mad_u64_u32 v[8:9], s[4:5], s18, v21, v[4:5]
	v_mul_hi_u32 v9, v13, v21
	v_add_u32_e32 v9, v21, v9
	v_lshrrev_b32_e32 v9, s38, v9
	v_sub_u32_e32 v17, v9, v17
	v_sub_u32_e32 v17, v17, v21
	v_fmac_f32_e32 v2, v22, v20
	v_mul_lo_u32 v20, v9, s37
	v_mul_lo_u32 v17, s36, v17
	v_sub_u32_e32 v20, v21, v20
	v_sub_u32_e32 v6, v17, v6
	;; [unrolled: 1-line block ×3, first 2 shown]
	v_add_u32_e32 v6, v4, v6
	v_mul_lo_u32 v17, v18, s29
	v_mul_lo_u32 v6, v6, s15
	v_add_u32_e32 v19, v18, v19
	v_add3_u32 v15, v17, v15, v6
	v_add_u32_e32 v4, 32, v4
	s_cbranch_scc0 .LBB2_32
; %bb.31:                               ;   in Loop: Header=BB2_22 Depth=1
	v_mov_b32_e32 v6, v8
	v_mov_b32_e32 v17, v9
	;; [unrolled: 1-line block ×3, first 2 shown]
	s_branch .LBB2_22
.LBB2_32:
	v_readfirstlane_b32 s2, v10
	v_and_b32_e32 v4, 28, v11
	v_lshlrev_b32_e32 v6, 2, v4
	v_lshlrev_b32_e32 v8, 4, v7
	v_add_lshl_u32 v4, s2, v4, 7
	v_add3_u32 v4, v6, v8, v4
	ds_write_b128 v4, v[0:3] offset:540
	; sched_barrier mask(0x00000000)
	v_and_b32_e32 v0, 3, v5
	v_and_or_b32 v0, v7, 12, v0
	v_bfe_u32 v1, v5, 2, 3
	v_lshlrev_b32_e32 v0, 2, v0
	v_mul_u32_u24_e32 v1, 0x210, v1
	s_lshl_b32 s0, s2, 5
	v_add3_u32 v2, v0, v1, s0
	s_waitcnt lgkmcnt(0)
	s_barrier
	ds_read2_b32 v[0:1], v2 offset0:199 offset1:231
	ds_read2_b32 v[2:3], v2 offset0:135 offset1:167
	s_mul_i32 s0, s16, s17
	s_add_i32 s3, s0, s13
	s_mul_hi_i32 s1, s19, s7
	s_mul_i32 s0, s19, s7
	s_lshl_b64 s[0:1], s[0:1], 1
	s_add_u32 s4, s10, s0
	s_addc_u32 s5, s11, s1
	s_mul_hi_i32 s1, s9, s8
	s_mul_i32 s0, s9, s8
	s_waitcnt lgkmcnt(0)
	v_add_f32_e32 v2, 0, v2
	s_lshl_b64 s[0:1], s[0:1], 1
	v_add_f32_e32 v2, v3, v2
	s_add_u32 s0, s4, s0
	v_add_f32_e32 v0, v0, v2
	s_addc_u32 s1, s5, s1
	v_add_f32_e32 v0, v1, v0
	s_lshl_b32 s2, s2, 1
	v_cvt_f16_f32_e32 v0, v0
	v_lshrrev_b32_e32 v1, 5, v5
	s_add_i32 s2, s2, s33
	v_and_b32_e32 v2, 31, v5
	v_add_u32_e32 v1, s2, v1
	v_add_u32_e32 v2, s6, v2
	v_mul_lo_u32 v1, v1, s16
	s_lshl_b32 s2, s3, 1
	s_mov_b32 s3, 0x20000
	v_add_lshl_u32 v1, v2, v1, 1
	buffer_store_short v0, v1, s[0:3], 0 offen
	s_endpgm
.LBB2_33:
	s_and_saveexec_b64 s[20:21], vcc
	s_cbranch_execz .LBB2_35
; %bb.34:
	v_sub_f32_e32 v0, v0, v12
	s_mov_b32 s2, 0x3fb8aa3b
	v_mul_f32_e32 v13, 0x3fb8aa3b, v0
	v_fma_f32 v14, v0, s2, -v13
	v_rndne_f32_e32 v13, v13
	v_fmac_f32_e32 v14, 0x32a5705f, v0
	v_mad_f32 v15, v0, s2, -v13
	v_add_f32_e32 v14, v15, v14
	v_exp_f32_e32 v14, v14
	v_cvt_i32_f32_e32 v13, v13
	s_mov_b32 s2, 0xc2ce8ed0
	v_lshl_add_u32 v3, v9, 2, v3
	v_cmp_ngt_f32_e64 s[2:3], s2, v0
	v_ldexp_f32 v9, v14, v13
	v_cndmask_b32_e64 v9, 0, v9, s[2:3]
	s_mov_b32 s2, 0x42b17218
	v_mov_b32_e32 v13, 0x7f800000
	v_cmp_nlt_f32_e64 s[2:3], s2, v0
	v_cndmask_b32_e64 v0, v13, v9, s[2:3]
	ds_write_b32 v3, v0
.LBB2_35:
	s_or_b64 exec, exec, s[20:21]
	s_mov_b64 s[20:21], 0
                                        ; implicit-def: $vgpr13
	s_and_saveexec_b64 s[2:3], s[0:1]
	s_xor_b64 s[34:35], exec, s[2:3]
	s_cbranch_execz .LBB2_37
; %bb.36:
	v_sub_f32_e32 v0, v1, v12
	s_mov_b32 s2, 0x3fb8aa3b
	v_mul_f32_e32 v1, 0x3fb8aa3b, v0
	v_fma_f32 v3, v0, s2, -v1
	v_rndne_f32_e32 v1, v1
	v_fmac_f32_e32 v3, 0x32a5705f, v0
	v_mad_f32 v9, v0, s2, -v1
	v_add_f32_e32 v3, v9, v3
	v_exp_f32_e32 v3, v3
	v_cvt_i32_f32_e32 v1, v1
	s_mov_b32 s2, 0xc2ce8ed0
	v_cmp_ngt_f32_e64 s[2:3], s2, v0
	s_mov_b64 s[20:21], exec
	v_ldexp_f32 v1, v3, v1
	v_cndmask_b32_e64 v1, 0, v1, s[2:3]
	s_mov_b32 s2, 0x42b17218
	v_mov_b32_e32 v3, 0x7f800000
	v_cmp_nlt_f32_e64 s[2:3], s2, v0
	v_cndmask_b32_e64 v13, v3, v1, s[2:3]
.LBB2_37:
	s_or_b64 exec, exec, s[34:35]
	s_and_b64 s[20:21], s[20:21], exec
                                        ; implicit-def: $vgpr9
                                        ; implicit-def: $vgpr3
	s_andn2_saveexec_b64 s[2:3], s[4:5]
	s_cbranch_execz .LBB2_18
.LBB2_38:
	s_and_saveexec_b64 s[4:5], vcc
	s_cbranch_execz .LBB2_40
; %bb.39:
	v_lshl_add_u32 v0, v9, 2, v3
	v_mov_b32_e32 v1, 0
	ds_write_b32 v0, v1
.LBB2_40:
	s_or_b64 exec, exec, s[4:5]
	s_andn2_b64 s[4:5], s[20:21], exec
	s_and_b64 s[0:1], s[0:1], exec
	v_mov_b32_e32 v13, 0
	s_or_b64 s[20:21], s[4:5], s[0:1]
	s_or_b64 exec, exec, s[2:3]
	s_and_saveexec_b64 s[0:1], s[20:21]
	s_cbranch_execnz .LBB2_19
	s_branch .LBB2_20
.LBB2_41:
                                        ; implicit-def: $vgpr4_vgpr5
	s_branch .LBB2_6
.LBB2_42:
                                        ; implicit-def: $vgpr6_vgpr7
	s_branch .LBB2_9
	.section	.rodata,"a",@progbits
	.p2align	6, 0x0
	.amdhsa_kernel _ZN7ck_tile6kentryINS_6gfx9_tELi3ENS_27FmhaFwdSplitKVCombineKernelINS_34BlockFmhaFwdSplitKVCombinePipelineINS_38BlockFmhaSplitKVCombinePipelineProblemIffDF16_Li128ELb0ELi32ENS_31TileFmhaFwdSplitKVCombineTraitsILb0ELb0ELb1ELb0ELi4ELin1EEEEENS_47BlockFmhaFwdSplitKVCombinePipelineDefaultPolicyEEENS_17Default2DEpilogueINS_24Default2DEpilogueProblemIfDF16_Lb0ELb0ELb1EEEvEEEEJNSE_14BatchModeKargsEEEENSt9enable_ifIXnt26kattr_no_packed_fp32_ops_vIT_EEvE4typeEDpT2_
		.amdhsa_group_segment_fixed_size 4748
		.amdhsa_private_segment_fixed_size 0
		.amdhsa_kernarg_size 104
		.amdhsa_user_sgpr_count 6
		.amdhsa_user_sgpr_private_segment_buffer 1
		.amdhsa_user_sgpr_dispatch_ptr 0
		.amdhsa_user_sgpr_queue_ptr 0
		.amdhsa_user_sgpr_kernarg_segment_ptr 1
		.amdhsa_user_sgpr_dispatch_id 0
		.amdhsa_user_sgpr_flat_scratch_init 0
		.amdhsa_user_sgpr_kernarg_preload_length 0
		.amdhsa_user_sgpr_kernarg_preload_offset 0
		.amdhsa_user_sgpr_private_segment_size 0
		.amdhsa_uses_dynamic_stack 0
		.amdhsa_system_sgpr_private_segment_wavefront_offset 0
		.amdhsa_system_sgpr_workgroup_id_x 1
		.amdhsa_system_sgpr_workgroup_id_y 1
		.amdhsa_system_sgpr_workgroup_id_z 1
		.amdhsa_system_sgpr_workgroup_info 0
		.amdhsa_system_vgpr_workitem_id 0
		.amdhsa_next_free_vgpr 23
		.amdhsa_next_free_sgpr 48
		.amdhsa_accum_offset 24
		.amdhsa_reserve_vcc 1
		.amdhsa_reserve_flat_scratch 0
		.amdhsa_float_round_mode_32 0
		.amdhsa_float_round_mode_16_64 0
		.amdhsa_float_denorm_mode_32 0
		.amdhsa_float_denorm_mode_16_64 3
		.amdhsa_dx10_clamp 1
		.amdhsa_ieee_mode 1
		.amdhsa_fp16_overflow 0
		.amdhsa_tg_split 0
		.amdhsa_exception_fp_ieee_invalid_op 0
		.amdhsa_exception_fp_denorm_src 0
		.amdhsa_exception_fp_ieee_div_zero 0
		.amdhsa_exception_fp_ieee_overflow 0
		.amdhsa_exception_fp_ieee_underflow 0
		.amdhsa_exception_fp_ieee_inexact 0
		.amdhsa_exception_int_div_zero 0
	.end_amdhsa_kernel
	.section	.text._ZN7ck_tile6kentryINS_6gfx9_tELi3ENS_27FmhaFwdSplitKVCombineKernelINS_34BlockFmhaFwdSplitKVCombinePipelineINS_38BlockFmhaSplitKVCombinePipelineProblemIffDF16_Li128ELb0ELi32ENS_31TileFmhaFwdSplitKVCombineTraitsILb0ELb0ELb1ELb0ELi4ELin1EEEEENS_47BlockFmhaFwdSplitKVCombinePipelineDefaultPolicyEEENS_17Default2DEpilogueINS_24Default2DEpilogueProblemIfDF16_Lb0ELb0ELb1EEEvEEEEJNSE_14BatchModeKargsEEEENSt9enable_ifIXnt26kattr_no_packed_fp32_ops_vIT_EEvE4typeEDpT2_,"axG",@progbits,_ZN7ck_tile6kentryINS_6gfx9_tELi3ENS_27FmhaFwdSplitKVCombineKernelINS_34BlockFmhaFwdSplitKVCombinePipelineINS_38BlockFmhaSplitKVCombinePipelineProblemIffDF16_Li128ELb0ELi32ENS_31TileFmhaFwdSplitKVCombineTraitsILb0ELb0ELb1ELb0ELi4ELin1EEEEENS_47BlockFmhaFwdSplitKVCombinePipelineDefaultPolicyEEENS_17Default2DEpilogueINS_24Default2DEpilogueProblemIfDF16_Lb0ELb0ELb1EEEvEEEEJNSE_14BatchModeKargsEEEENSt9enable_ifIXnt26kattr_no_packed_fp32_ops_vIT_EEvE4typeEDpT2_,comdat
.Lfunc_end2:
	.size	_ZN7ck_tile6kentryINS_6gfx9_tELi3ENS_27FmhaFwdSplitKVCombineKernelINS_34BlockFmhaFwdSplitKVCombinePipelineINS_38BlockFmhaSplitKVCombinePipelineProblemIffDF16_Li128ELb0ELi32ENS_31TileFmhaFwdSplitKVCombineTraitsILb0ELb0ELb1ELb0ELi4ELin1EEEEENS_47BlockFmhaFwdSplitKVCombinePipelineDefaultPolicyEEENS_17Default2DEpilogueINS_24Default2DEpilogueProblemIfDF16_Lb0ELb0ELb1EEEvEEEEJNSE_14BatchModeKargsEEEENSt9enable_ifIXnt26kattr_no_packed_fp32_ops_vIT_EEvE4typeEDpT2_, .Lfunc_end2-_ZN7ck_tile6kentryINS_6gfx9_tELi3ENS_27FmhaFwdSplitKVCombineKernelINS_34BlockFmhaFwdSplitKVCombinePipelineINS_38BlockFmhaSplitKVCombinePipelineProblemIffDF16_Li128ELb0ELi32ENS_31TileFmhaFwdSplitKVCombineTraitsILb0ELb0ELb1ELb0ELi4ELin1EEEEENS_47BlockFmhaFwdSplitKVCombinePipelineDefaultPolicyEEENS_17Default2DEpilogueINS_24Default2DEpilogueProblemIfDF16_Lb0ELb0ELb1EEEvEEEEJNSE_14BatchModeKargsEEEENSt9enable_ifIXnt26kattr_no_packed_fp32_ops_vIT_EEvE4typeEDpT2_
                                        ; -- End function
	.section	.AMDGPU.csdata,"",@progbits
; Kernel info:
; codeLenInByte = 3528
; NumSgprs: 52
; NumVgprs: 23
; NumAgprs: 0
; TotalNumVgprs: 23
; ScratchSize: 0
; MemoryBound: 0
; FloatMode: 192
; IeeeMode: 1
; LDSByteSize: 4748 bytes/workgroup (compile time only)
; SGPRBlocks: 6
; VGPRBlocks: 2
; NumSGPRsForWavesPerEU: 52
; NumVGPRsForWavesPerEU: 23
; AccumOffset: 24
; Occupancy: 8
; WaveLimiterHint : 0
; COMPUTE_PGM_RSRC2:SCRATCH_EN: 0
; COMPUTE_PGM_RSRC2:USER_SGPR: 6
; COMPUTE_PGM_RSRC2:TRAP_HANDLER: 0
; COMPUTE_PGM_RSRC2:TGID_X_EN: 1
; COMPUTE_PGM_RSRC2:TGID_Y_EN: 1
; COMPUTE_PGM_RSRC2:TGID_Z_EN: 1
; COMPUTE_PGM_RSRC2:TIDIG_COMP_CNT: 0
; COMPUTE_PGM_RSRC3_GFX90A:ACCUM_OFFSET: 5
; COMPUTE_PGM_RSRC3_GFX90A:TG_SPLIT: 0
	.section	.text._ZN7ck_tile6kentryINS_6gfx9_tELi3ENS_27FmhaFwdSplitKVCombineKernelINS_34BlockFmhaFwdSplitKVCombinePipelineINS_38BlockFmhaSplitKVCombinePipelineProblemIffDF16_Li128ELb0ELi32ENS_31TileFmhaFwdSplitKVCombineTraitsILb0ELb0ELb1ELb0ELi5ELin1EEEEENS_47BlockFmhaFwdSplitKVCombinePipelineDefaultPolicyEEENS_17Default2DEpilogueINS_24Default2DEpilogueProblemIfDF16_Lb0ELb0ELb1EEEvEEEEJNSE_14BatchModeKargsEEEENSt9enable_ifIXnt26kattr_no_packed_fp32_ops_vIT_EEvE4typeEDpT2_,"axG",@progbits,_ZN7ck_tile6kentryINS_6gfx9_tELi3ENS_27FmhaFwdSplitKVCombineKernelINS_34BlockFmhaFwdSplitKVCombinePipelineINS_38BlockFmhaSplitKVCombinePipelineProblemIffDF16_Li128ELb0ELi32ENS_31TileFmhaFwdSplitKVCombineTraitsILb0ELb0ELb1ELb0ELi5ELin1EEEEENS_47BlockFmhaFwdSplitKVCombinePipelineDefaultPolicyEEENS_17Default2DEpilogueINS_24Default2DEpilogueProblemIfDF16_Lb0ELb0ELb1EEEvEEEEJNSE_14BatchModeKargsEEEENSt9enable_ifIXnt26kattr_no_packed_fp32_ops_vIT_EEvE4typeEDpT2_,comdat
	.protected	_ZN7ck_tile6kentryINS_6gfx9_tELi3ENS_27FmhaFwdSplitKVCombineKernelINS_34BlockFmhaFwdSplitKVCombinePipelineINS_38BlockFmhaSplitKVCombinePipelineProblemIffDF16_Li128ELb0ELi32ENS_31TileFmhaFwdSplitKVCombineTraitsILb0ELb0ELb1ELb0ELi5ELin1EEEEENS_47BlockFmhaFwdSplitKVCombinePipelineDefaultPolicyEEENS_17Default2DEpilogueINS_24Default2DEpilogueProblemIfDF16_Lb0ELb0ELb1EEEvEEEEJNSE_14BatchModeKargsEEEENSt9enable_ifIXnt26kattr_no_packed_fp32_ops_vIT_EEvE4typeEDpT2_ ; -- Begin function _ZN7ck_tile6kentryINS_6gfx9_tELi3ENS_27FmhaFwdSplitKVCombineKernelINS_34BlockFmhaFwdSplitKVCombinePipelineINS_38BlockFmhaSplitKVCombinePipelineProblemIffDF16_Li128ELb0ELi32ENS_31TileFmhaFwdSplitKVCombineTraitsILb0ELb0ELb1ELb0ELi5ELin1EEEEENS_47BlockFmhaFwdSplitKVCombinePipelineDefaultPolicyEEENS_17Default2DEpilogueINS_24Default2DEpilogueProblemIfDF16_Lb0ELb0ELb1EEEvEEEEJNSE_14BatchModeKargsEEEENSt9enable_ifIXnt26kattr_no_packed_fp32_ops_vIT_EEvE4typeEDpT2_
	.globl	_ZN7ck_tile6kentryINS_6gfx9_tELi3ENS_27FmhaFwdSplitKVCombineKernelINS_34BlockFmhaFwdSplitKVCombinePipelineINS_38BlockFmhaSplitKVCombinePipelineProblemIffDF16_Li128ELb0ELi32ENS_31TileFmhaFwdSplitKVCombineTraitsILb0ELb0ELb1ELb0ELi5ELin1EEEEENS_47BlockFmhaFwdSplitKVCombinePipelineDefaultPolicyEEENS_17Default2DEpilogueINS_24Default2DEpilogueProblemIfDF16_Lb0ELb0ELb1EEEvEEEEJNSE_14BatchModeKargsEEEENSt9enable_ifIXnt26kattr_no_packed_fp32_ops_vIT_EEvE4typeEDpT2_
	.p2align	8
	.type	_ZN7ck_tile6kentryINS_6gfx9_tELi3ENS_27FmhaFwdSplitKVCombineKernelINS_34BlockFmhaFwdSplitKVCombinePipelineINS_38BlockFmhaSplitKVCombinePipelineProblemIffDF16_Li128ELb0ELi32ENS_31TileFmhaFwdSplitKVCombineTraitsILb0ELb0ELb1ELb0ELi5ELin1EEEEENS_47BlockFmhaFwdSplitKVCombinePipelineDefaultPolicyEEENS_17Default2DEpilogueINS_24Default2DEpilogueProblemIfDF16_Lb0ELb0ELb1EEEvEEEEJNSE_14BatchModeKargsEEEENSt9enable_ifIXnt26kattr_no_packed_fp32_ops_vIT_EEvE4typeEDpT2_,@function
_ZN7ck_tile6kentryINS_6gfx9_tELi3ENS_27FmhaFwdSplitKVCombineKernelINS_34BlockFmhaFwdSplitKVCombinePipelineINS_38BlockFmhaSplitKVCombinePipelineProblemIffDF16_Li128ELb0ELi32ENS_31TileFmhaFwdSplitKVCombineTraitsILb0ELb0ELb1ELb0ELi5ELin1EEEEENS_47BlockFmhaFwdSplitKVCombinePipelineDefaultPolicyEEENS_17Default2DEpilogueINS_24Default2DEpilogueProblemIfDF16_Lb0ELb0ELb1EEEvEEEEJNSE_14BatchModeKargsEEEENSt9enable_ifIXnt26kattr_no_packed_fp32_ops_vIT_EEvE4typeEDpT2_: ; @_ZN7ck_tile6kentryINS_6gfx9_tELi3ENS_27FmhaFwdSplitKVCombineKernelINS_34BlockFmhaFwdSplitKVCombinePipelineINS_38BlockFmhaSplitKVCombinePipelineProblemIffDF16_Li128ELb0ELi32ENS_31TileFmhaFwdSplitKVCombineTraitsILb0ELb0ELb1ELb0ELi5ELin1EEEEENS_47BlockFmhaFwdSplitKVCombinePipelineDefaultPolicyEEENS_17Default2DEpilogueINS_24Default2DEpilogueProblemIfDF16_Lb0ELb0ELb1EEEvEEEEJNSE_14BatchModeKargsEEEENSt9enable_ifIXnt26kattr_no_packed_fp32_ops_vIT_EEvE4typeEDpT2_
; %bb.0:
	s_load_dwordx8 s[12:19], s[4:5], 0x1c
	s_load_dwordx4 s[20:23], s[4:5], 0x0
	s_load_dwordx2 s[28:29], s[4:5], 0x10
	s_load_dwordx2 s[30:31], s[4:5], 0x3c
	;; [unrolled: 1-line block ×3, first 2 shown]
	s_load_dword s9, s[4:5], 0x60
	s_load_dwordx4 s[24:27], s[4:5], 0x50
	s_ashr_i32 s2, s6, 31
	s_mov_b32 s42, -1
	s_waitcnt lgkmcnt(0)
	s_add_i32 s0, s13, 31
	s_ashr_i32 s1, s0, 31
	s_lshr_b32 s1, s1, 27
	s_add_i32 s3, s0, s1
	s_ashr_i32 s0, s3, 5
	s_abs_i32 s1, s0
	v_cvt_f32_u32_e32 v1, s1
	s_sub_i32 s5, 0, s1
	s_ashr_i32 s4, s3, 31
	s_abs_i32 s3, s6
	v_rcp_iflag_f32_e32 v1, v1
	s_add_i32 s45, s14, 3
	v_mul_f32_e32 v1, 0x4f7ffffe, v1
	v_cvt_u32_f32_e32 v1, v1
	v_readfirstlane_b32 s10, v1
	s_mul_i32 s5, s5, s10
	s_mul_hi_u32 s5, s10, s5
	s_add_i32 s10, s10, s5
	s_mul_hi_u32 s5, s3, s10
	s_getpc_b64 s[10:11]
	s_add_u32 s10, s10, _ZN7ck_tile34BlockFmhaFwdSplitKVCombinePipelineINS_38BlockFmhaSplitKVCombinePipelineProblemIffDF16_Li128ELb0ELi32ENS_31TileFmhaFwdSplitKVCombineTraitsILb0ELb0ELb1ELb0ELi5ELin1EEEEENS_47BlockFmhaFwdSplitKVCombinePipelineDefaultPolicyEE3kM0E@rel32@lo+4
	s_addc_u32 s11, s11, _ZN7ck_tile34BlockFmhaFwdSplitKVCombinePipelineINS_38BlockFmhaSplitKVCombinePipelineProblemIffDF16_Li128ELb0ELi32ENS_31TileFmhaFwdSplitKVCombineTraitsILb0ELb0ELb1ELb0ELi5ELin1EEEEENS_47BlockFmhaFwdSplitKVCombinePipelineDefaultPolicyEE3kM0E@rel32@hi+12
	s_load_dword s40, s[10:11], 0x0
	s_ashr_i32 s10, s45, 31
	s_lshr_b32 s10, s10, 30
	s_add_i32 s10, s45, s10
	s_ashr_i32 s44, s10, 2
	s_and_b32 s41, s10, -4
.LBB3_1:                                ; =>This Inner Loop Header: Depth=1
	s_add_i32 s42, s42, 1
	s_lshl_b32 s10, 1, s42
	s_cmp_lt_u32 s10, s41
	s_cbranch_scc1 .LBB3_1
; %bb.2:
	s_mov_b32 s43, -1
.LBB3_3:                                ; =>This Inner Loop Header: Depth=1
	s_add_i32 s43, s43, 1
	s_lshl_b32 s10, 1, s43
	s_waitcnt lgkmcnt(0)
	s_cmp_lt_u32 s10, s40
	s_cbranch_scc1 .LBB3_3
; %bb.4:
	s_xor_b32 s2, s2, s4
	s_mul_i32 s4, s5, s1
	s_sub_i32 s3, s3, s4
	s_add_i32 s4, s5, 1
	s_sub_i32 s10, s3, s1
	s_cmp_ge_u32 s3, s1
	s_cselect_b32 s4, s4, s5
	s_cselect_b32 s3, s10, s3
	s_add_i32 s5, s4, 1
	s_cmp_ge_u32 s3, s1
	s_cselect_b32 s1, s5, s4
	s_xor_b32 s1, s1, s2
	s_sub_i32 s46, s1, s2
	s_mul_i32 s0, s46, s0
	s_sub_i32 s0, s6, s0
	s_lshl_b32 s6, s0, 5
	s_lshl_b64 s[0:1], 1, s42
	s_lshl_b32 s33, s46, 3
	s_mov_b32 s2, 0
	s_sub_i32 s3, s0, s41
	s_cmp_lg_u64 s[2:3], 0
	s_cbranch_scc0 .LBB3_51
; %bb.5:
	v_cvt_f32_u32_e32 v1, s41
	v_mov_b32_e32 v2, 0x4f800000
	s_sub_u32 s2, 0, s41
	s_subb_u32 s4, 0, 0
	v_mac_f32_e32 v1, 0, v2
	v_rcp_f32_e32 v1, v1
	v_mul_f32_e32 v1, 0x5f7ffffc, v1
	v_mul_f32_e32 v2, 0x2f800000, v1
	v_trunc_f32_e32 v2, v2
	v_madmk_f32 v1, v2, 0xcf800000, v1
	v_cvt_u32_f32_e32 v2, v2
	v_cvt_u32_f32_e32 v1, v1
	v_readfirstlane_b32 s5, v2
	v_readfirstlane_b32 s10, v1
	s_mul_i32 s11, s2, s5
	s_mul_hi_u32 s37, s2, s10
	s_mul_i32 s36, s4, s10
	s_add_i32 s11, s37, s11
	s_add_i32 s11, s11, s36
	s_mul_i32 s38, s2, s10
	s_mul_hi_u32 s36, s10, s11
	s_mul_i32 s37, s10, s11
	s_mul_hi_u32 s10, s10, s38
	s_add_u32 s10, s10, s37
	s_addc_u32 s36, 0, s36
	s_mul_hi_u32 s39, s5, s38
	s_mul_i32 s38, s5, s38
	s_add_u32 s10, s10, s38
	s_mul_hi_u32 s37, s5, s11
	s_addc_u32 s10, s36, s39
	s_addc_u32 s36, s37, 0
	s_mul_i32 s11, s5, s11
	s_add_u32 s10, s10, s11
	s_addc_u32 s11, 0, s36
	v_add_co_u32_e32 v1, vcc, s10, v1
	s_cmp_lg_u64 vcc, 0
	s_addc_u32 s5, s5, s11
	v_readfirstlane_b32 s11, v1
	s_mul_i32 s10, s2, s5
	s_mul_hi_u32 s36, s2, s11
	s_add_i32 s10, s36, s10
	s_mul_i32 s4, s4, s11
	s_add_i32 s10, s10, s4
	s_mul_i32 s2, s2, s11
	s_mul_hi_u32 s36, s5, s2
	s_mul_i32 s37, s5, s2
	s_mul_i32 s39, s11, s10
	s_mul_hi_u32 s2, s11, s2
	s_mul_hi_u32 s38, s11, s10
	s_add_u32 s2, s2, s39
	s_addc_u32 s11, 0, s38
	s_add_u32 s2, s2, s37
	s_mul_hi_u32 s4, s5, s10
	s_addc_u32 s2, s11, s36
	s_addc_u32 s4, s4, 0
	s_mul_i32 s10, s5, s10
	s_add_u32 s2, s2, s10
	s_addc_u32 s4, 0, s4
	v_add_co_u32_e32 v1, vcc, s2, v1
	s_cmp_lg_u64 vcc, 0
	s_addc_u32 s2, s5, s4
	v_readfirstlane_b32 s10, v1
	s_mul_i32 s5, s2, 0
	s_mul_hi_u32 s11, 0, s10
	s_mul_hi_u32 s4, 0, s2
	s_add_u32 s5, s11, s5
	s_addc_u32 s4, 0, s4
	s_mul_hi_u32 s36, s3, s10
	s_mul_i32 s10, s3, s10
	s_add_u32 s5, s5, s10
	s_mul_hi_u32 s11, s3, s2
	s_addc_u32 s4, s4, s36
	s_addc_u32 s5, s11, 0
	s_mul_i32 s2, s3, s2
	s_add_u32 s2, s4, s2
	s_addc_u32 s4, 0, s5
	s_mul_i32 s4, s41, s4
	s_mul_hi_u32 s5, s41, s2
	s_add_i32 s36, s5, s4
	s_mul_i32 s4, s41, s2
	s_add_u32 s10, s2, 1
	s_add_u32 s11, s2, 2
	v_sub_co_u32_e64 v1, s[4:5], 0, s4
	s_cmp_lg_u64 s[4:5], 0
	s_subb_u32 s3, s3, s36
	v_subrev_co_u32_e32 v2, vcc, s41, v1
	s_cmp_lg_u64 vcc, 0
	s_subb_u32 s4, s3, 0
	v_cmp_le_u32_e32 vcc, s41, v2
	s_cmp_eq_u32 s4, 0
	v_cndmask_b32_e64 v2, 0, -1, vcc
	s_cselect_b64 vcc, -1, 0
	v_cndmask_b32_e32 v2, -1, v2, vcc
	v_mov_b32_e32 v3, s10
	v_mov_b32_e32 v4, s11
	v_cmp_ne_u32_e32 vcc, 0, v2
	v_cndmask_b32_e32 v2, v3, v4, vcc
	v_cmp_le_u32_e32 vcc, s41, v1
	s_cmp_eq_u32 s3, 0
	v_cndmask_b32_e64 v1, 0, -1, vcc
	s_cselect_b64 vcc, -1, 0
	v_cndmask_b32_e32 v1, -1, v1, vcc
	v_mov_b32_e32 v3, s2
	v_cmp_ne_u32_e32 vcc, 0, v1
	v_cndmask_b32_e32 v4, v3, v2, vcc
	s_cbranch_execnz .LBB3_7
.LBB3_6:
	v_cvt_f32_u32_e32 v1, s41
	s_sub_i32 s0, 0, s41
	s_mov_b32 s1, 0
	v_rcp_iflag_f32_e32 v1, v1
	v_mul_f32_e32 v1, 0x4f7ffffe, v1
	v_cvt_u32_f32_e32 v1, v1
	v_readfirstlane_b32 s2, v1
	s_mul_i32 s0, s0, s2
	s_mul_hi_u32 s0, s2, s0
	s_add_i32 s2, s2, s0
	s_mul_hi_u32 s0, 0, s2
	s_mul_i32 s3, s0, s41
	s_sub_i32 s3, 0, s3
	s_add_i32 s2, s0, 1
	s_sub_i32 s4, s3, s41
	s_cmp_ge_u32 s3, s41
	s_cselect_b32 s0, s2, s0
	s_cselect_b32 s3, s4, s3
	s_add_i32 s2, s0, 1
	s_cmp_ge_u32 s3, s41
	s_cselect_b32 s0, s2, s0
	v_pk_mov_b32 v[4:5], s[0:1], s[0:1] op_sel:[0,1]
.LBB3_7:
	s_lshl_b64 s[0:1], 1, s43
	s_mov_b32 s2, 0
	s_sub_i32 s3, s0, s40
	s_cmp_lg_u64 s[2:3], 0
	s_cbranch_scc0 .LBB3_52
; %bb.8:
	v_cvt_f32_u32_e32 v1, s40
	v_mov_b32_e32 v2, 0x4f800000
	s_sub_u32 s2, 0, s40
	s_subb_u32 s4, 0, 0
	v_mac_f32_e32 v1, 0, v2
	v_rcp_f32_e32 v1, v1
	v_mul_f32_e32 v1, 0x5f7ffffc, v1
	v_mul_f32_e32 v2, 0x2f800000, v1
	v_trunc_f32_e32 v2, v2
	v_madmk_f32 v1, v2, 0xcf800000, v1
	v_cvt_u32_f32_e32 v2, v2
	v_cvt_u32_f32_e32 v1, v1
	v_readfirstlane_b32 s5, v2
	v_readfirstlane_b32 s10, v1
	s_mul_i32 s11, s2, s5
	s_mul_hi_u32 s37, s2, s10
	s_mul_i32 s36, s4, s10
	s_add_i32 s11, s37, s11
	s_add_i32 s11, s11, s36
	s_mul_i32 s38, s2, s10
	s_mul_hi_u32 s36, s10, s11
	s_mul_i32 s37, s10, s11
	s_mul_hi_u32 s10, s10, s38
	s_add_u32 s10, s10, s37
	s_addc_u32 s36, 0, s36
	s_mul_hi_u32 s39, s5, s38
	s_mul_i32 s38, s5, s38
	s_add_u32 s10, s10, s38
	s_mul_hi_u32 s37, s5, s11
	s_addc_u32 s10, s36, s39
	s_addc_u32 s36, s37, 0
	s_mul_i32 s11, s5, s11
	s_add_u32 s10, s10, s11
	s_addc_u32 s11, 0, s36
	v_add_co_u32_e32 v1, vcc, s10, v1
	s_cmp_lg_u64 vcc, 0
	s_addc_u32 s5, s5, s11
	v_readfirstlane_b32 s11, v1
	s_mul_i32 s10, s2, s5
	s_mul_hi_u32 s36, s2, s11
	s_add_i32 s10, s36, s10
	s_mul_i32 s4, s4, s11
	s_add_i32 s10, s10, s4
	s_mul_i32 s2, s2, s11
	s_mul_hi_u32 s36, s5, s2
	s_mul_i32 s37, s5, s2
	s_mul_i32 s39, s11, s10
	s_mul_hi_u32 s2, s11, s2
	s_mul_hi_u32 s38, s11, s10
	s_add_u32 s2, s2, s39
	s_addc_u32 s11, 0, s38
	s_add_u32 s2, s2, s37
	s_mul_hi_u32 s4, s5, s10
	s_addc_u32 s2, s11, s36
	s_addc_u32 s4, s4, 0
	s_mul_i32 s10, s5, s10
	s_add_u32 s2, s2, s10
	s_addc_u32 s4, 0, s4
	v_add_co_u32_e32 v1, vcc, s2, v1
	s_cmp_lg_u64 vcc, 0
	s_addc_u32 s2, s5, s4
	v_readfirstlane_b32 s10, v1
	s_mul_i32 s5, s2, 0
	s_mul_hi_u32 s11, 0, s10
	s_mul_hi_u32 s4, 0, s2
	s_add_u32 s5, s11, s5
	s_addc_u32 s4, 0, s4
	s_mul_hi_u32 s36, s3, s10
	s_mul_i32 s10, s3, s10
	s_add_u32 s5, s5, s10
	s_mul_hi_u32 s11, s3, s2
	s_addc_u32 s4, s4, s36
	s_addc_u32 s5, s11, 0
	s_mul_i32 s2, s3, s2
	s_add_u32 s2, s4, s2
	s_addc_u32 s4, 0, s5
	s_mul_i32 s4, s40, s4
	s_mul_hi_u32 s5, s40, s2
	s_add_i32 s36, s5, s4
	s_mul_i32 s4, s40, s2
	s_add_u32 s10, s2, 1
	s_add_u32 s11, s2, 2
	v_sub_co_u32_e64 v1, s[4:5], 0, s4
	s_cmp_lg_u64 s[4:5], 0
	s_subb_u32 s3, s3, s36
	v_subrev_co_u32_e32 v2, vcc, s40, v1
	s_cmp_lg_u64 vcc, 0
	s_subb_u32 s4, s3, 0
	v_cmp_le_u32_e32 vcc, s40, v2
	s_cmp_eq_u32 s4, 0
	v_cndmask_b32_e64 v2, 0, -1, vcc
	s_cselect_b64 vcc, -1, 0
	v_cndmask_b32_e32 v2, -1, v2, vcc
	v_mov_b32_e32 v3, s10
	v_mov_b32_e32 v5, s11
	v_cmp_ne_u32_e32 vcc, 0, v2
	v_cndmask_b32_e32 v2, v3, v5, vcc
	v_cmp_le_u32_e32 vcc, s40, v1
	s_cmp_eq_u32 s3, 0
	v_cndmask_b32_e64 v1, 0, -1, vcc
	s_cselect_b64 vcc, -1, 0
	v_cndmask_b32_e32 v1, -1, v1, vcc
	v_mov_b32_e32 v3, s2
	v_cmp_ne_u32_e32 vcc, 0, v1
	v_cndmask_b32_e32 v6, v3, v2, vcc
	s_cbranch_execnz .LBB3_10
.LBB3_9:
	v_cvt_f32_u32_e32 v1, s40
	s_sub_i32 s0, 0, s40
	s_mov_b32 s1, 0
	v_rcp_iflag_f32_e32 v1, v1
	v_mul_f32_e32 v1, 0x4f7ffffe, v1
	v_cvt_u32_f32_e32 v1, v1
	v_readfirstlane_b32 s2, v1
	s_mul_i32 s0, s0, s2
	s_mul_hi_u32 s0, s2, s0
	s_add_i32 s2, s2, s0
	s_mul_hi_u32 s0, 0, s2
	s_mul_i32 s3, s0, s40
	s_sub_i32 s3, 0, s3
	s_add_i32 s2, s0, 1
	s_sub_i32 s4, s3, s40
	s_cmp_ge_u32 s3, s40
	s_cselect_b32 s0, s2, s0
	s_cselect_b32 s3, s4, s3
	s_add_i32 s2, s0, 1
	s_cmp_ge_u32 s3, s40
	s_cselect_b32 s0, s2, s0
	v_pk_mov_b32 v[6:7], s[0:1], s[0:1] op_sel:[0,1]
.LBB3_10:
	v_lshrrev_b32_e32 v10, 6, v0
	v_readfirstlane_b32 s0, v10
	v_mbcnt_lo_u32_b32 v0, -1, 0
	v_mbcnt_hi_u32_b32 v5, -1, v0
	s_lshl_b32 s0, s0, 3
	v_lshrrev_b32_e32 v7, 3, v5
	s_and_b32 s0, s0, 24
	v_add_u32_e32 v0, s0, v7
	s_add_i32 s47, s14, -1
	v_and_b32_e32 v8, 7, v5
	v_cmp_gt_i32_e32 vcc, s14, v0
	v_mov_b32_e32 v1, 0
	s_and_saveexec_b64 s[0:1], vcc
	s_cbranch_execz .LBB3_12
; %bb.11:
	s_mul_hi_i32 s5, s17, s7
	s_mul_i32 s4, s17, s7
	s_lshl_b64 s[4:5], s[4:5], 2
	s_mul_hi_i32 s3, s26, s8
	s_mul_i32 s2, s26, s8
	s_add_u32 s4, s20, s4
	s_addc_u32 s5, s21, s5
	s_lshl_b64 s[2:3], s[2:3], 2
	s_add_u32 s36, s4, s2
	s_mul_i32 s2, s30, s47
	s_addc_u32 s37, s5, s3
	s_add_i32 s2, s2, s12
	v_mul_lo_u32 v0, v0, s30
	v_add_u32_e32 v1, s33, v8
	v_add_lshl_u32 v0, v1, v0, 2
	s_lshl_b32 s38, s2, 2
	s_mov_b32 s39, 0x20000
	buffer_load_dword v1, v0, s[36:39], 0 offen
.LBB3_12:
	s_or_b64 exec, exec, s[0:1]
	v_readfirstlane_b32 s0, v10
	v_mul_u32_u24_e32 v0, 33, v8
	s_lshl_b32 s0, s0, 5
	v_lshlrev_b32_e32 v9, 2, v0
	v_lshlrev_b32_e32 v0, 2, v7
	s_and_b32 s0, s0, 0x60
	v_add3_u32 v0, v9, v0, s0
	s_waitcnt vmcnt(0)
	ds_write_b32 v0, v1
	; sched_barrier mask(0x00000000)
	v_lshrrev_b32_e32 v2, 1, v5
	v_and_b32_e32 v12, 60, v2
	v_cmp_gt_i32_e32 vcc, s14, v12
	v_mov_b32_e32 v1, 0xff800000
	v_mov_b32_e32 v0, 0xff800000
	s_waitcnt lgkmcnt(0)
	s_barrier
	s_and_saveexec_b64 s[0:1], vcc
	s_cbranch_execz .LBB3_14
; %bb.13:
	v_lshl_add_u32 v0, v12, 2, v9
	ds_read_b32 v0, v0
.LBB3_14:
	s_or_b64 exec, exec, s[0:1]
	v_or_b32_e32 v3, 1, v12
	v_cmp_gt_i32_e64 s[0:1], s14, v3
	s_and_saveexec_b64 s[2:3], s[0:1]
	s_cbranch_execz .LBB3_16
; %bb.15:
	v_lshl_add_u32 v1, v12, 2, v9
	ds_read_b32 v1, v1 offset:4
.LBB3_16:
	s_or_b64 exec, exec, s[2:3]
	v_or_b32_e32 v3, 2, v12
	v_cmp_gt_i32_e64 s[2:3], s14, v3
	v_mov_b32_e32 v13, 0xff800000
	v_mov_b32_e32 v14, 0xff800000
	s_and_saveexec_b64 s[4:5], s[2:3]
	s_cbranch_execz .LBB3_18
; %bb.17:
	v_lshl_add_u32 v3, v12, 2, v9
	ds_read_b32 v14, v3 offset:8
.LBB3_18:
	s_or_b64 exec, exec, s[4:5]
	v_or_b32_e32 v2, 3, v2
	v_cmp_gt_i32_e64 s[4:5], s14, v2
	v_lshl_add_u32 v3, v2, 2, v9
	s_and_saveexec_b64 s[10:11], s[4:5]
	s_cbranch_execz .LBB3_20
; %bb.19:
	ds_read_b32 v13, v3
.LBB3_20:
	s_or_b64 exec, exec, s[10:11]
	s_mov_b32 s17, 0xff800000
	s_waitcnt lgkmcnt(0)
	v_max3_f32 v2, v0, s17, v1
	v_max3_f32 v2, v2, v14, v13
	v_lshlrev_b32_e32 v11, 2, v5
	ds_bpermute_b32 v15, v11, v2 offset:128
	v_add_u32_e32 v17, 0x80, v11
	v_add_u32_e32 v16, 64, v11
	s_waitcnt lgkmcnt(0)
	v_max_f32_e32 v15, v15, v15
	v_max_f32_e32 v2, v2, v15
	ds_bpermute_b32 v15, v11, v2 offset:64
	s_waitcnt lgkmcnt(0)
	v_max_f32_e32 v15, v15, v15
	v_max_f32_e32 v2, v2, v15
	ds_bpermute_b32 v18, v11, v2 offset:32
	v_add_u32_e32 v15, 32, v11
	s_waitcnt lgkmcnt(0)
	v_max_f32_e32 v18, v18, v18
	v_max_f32_e32 v2, v2, v18
	v_cmp_neq_f32_e64 s[10:11], s17, v2
	v_mov_b32_e32 v18, 0
	s_and_saveexec_b64 s[20:21], s[10:11]
	s_cbranch_execz .LBB3_22
; %bb.21:
	v_pk_add_f32 v[18:19], v[0:1], v[2:3] op_sel_hi:[1,0] neg_lo:[0,1] neg_hi:[0,1]
	s_mov_b32 s26, 0x3fb8aa3b
	v_mul_f32_e32 v20, 0x3fb8aa3b, v19
	v_fma_f32 v21, v19, s26, -v20
	v_rndne_f32_e32 v20, v20
	v_fmac_f32_e32 v21, 0x32a5705f, v19
	v_mad_f32 v22, v19, s26, -v20
	v_add_f32_e32 v21, v22, v21
	v_exp_f32_e32 v21, v21
	v_cvt_i32_f32_e32 v20, v20
	s_mov_b32 s30, 0xc2ce8ed0
	v_cmp_ngt_f32_e64 s[10:11], s30, v19
	s_mov_b32 s36, 0x42b17218
	v_ldexp_f32 v20, v21, v20
	v_mul_f32_e32 v21, 0x3fb8aa3b, v18
	v_fma_f32 v22, v18, s26, -v21
	v_rndne_f32_e32 v21, v21
	v_fmac_f32_e32 v22, 0x32a5705f, v18
	v_mad_f32 v23, v18, s26, -v21
	v_add_f32_e32 v22, v23, v22
	v_exp_f32_e32 v22, v22
	v_cvt_i32_f32_e32 v21, v21
	v_cndmask_b32_e64 v20, 0, v20, s[10:11]
	v_mov_b32_e32 v23, 0x7f800000
	v_cmp_nlt_f32_e64 s[10:11], s36, v19
	v_cndmask_b32_e64 v19, v23, v20, s[10:11]
	v_ldexp_f32 v20, v22, v21
	v_sub_f32_e32 v21, v14, v2
	v_mul_f32_e32 v22, 0x3fb8aa3b, v21
	v_fma_f32 v24, v21, s26, -v22
	v_rndne_f32_e32 v22, v22
	v_fmac_f32_e32 v24, 0x32a5705f, v21
	v_mad_f32 v25, v21, s26, -v22
	v_add_f32_e32 v24, v25, v24
	v_exp_f32_e32 v24, v24
	v_cvt_i32_f32_e32 v22, v22
	v_cmp_ngt_f32_e64 s[10:11], s30, v18
	v_cndmask_b32_e64 v20, 0, v20, s[10:11]
	v_cmp_nlt_f32_e64 s[10:11], s36, v18
	v_cndmask_b32_e64 v18, v23, v20, s[10:11]
	v_ldexp_f32 v20, v24, v22
	v_sub_f32_e32 v22, v13, v2
	v_mul_f32_e32 v24, 0x3fb8aa3b, v22
	v_fma_f32 v25, v22, s26, -v24
	v_rndne_f32_e32 v24, v24
	v_fmac_f32_e32 v25, 0x32a5705f, v22
	v_mad_f32 v26, v22, s26, -v24
	v_add_f32_e32 v25, v26, v25
	v_exp_f32_e32 v25, v25
	v_cvt_i32_f32_e32 v24, v24
	v_cmp_ngt_f32_e64 s[10:11], s30, v21
	v_cndmask_b32_e64 v20, 0, v20, s[10:11]
	v_cmp_nlt_f32_e64 s[10:11], s36, v21
	v_cndmask_b32_e64 v20, v23, v20, s[10:11]
	v_ldexp_f32 v21, v25, v24
	v_cmp_ngt_f32_e64 s[10:11], s30, v22
	v_cndmask_b32_e64 v21, 0, v21, s[10:11]
	v_cmp_nlt_f32_e64 s[10:11], s36, v22
	v_add_f32_e32 v18, v18, v19
	v_cndmask_b32_e64 v21, v23, v21, s[10:11]
	v_add_f32_e32 v18, v20, v18
	v_add_f32_e32 v18, v21, v18
.LBB3_22:
	s_or_b64 exec, exec, s[20:21]
	ds_bpermute_b32 v17, v17, v18
	s_mov_b32 s10, 0x3f317217
	s_mov_b32 s11, 0x7f800000
	s_mov_b64 s[36:37], 0
	s_waitcnt lgkmcnt(0)
	v_add_f32_e32 v17, v18, v17
	ds_bpermute_b32 v16, v16, v17
	s_barrier
	s_waitcnt lgkmcnt(0)
	v_add_f32_e32 v16, v17, v16
	ds_bpermute_b32 v15, v15, v16
	v_mov_b32_e32 v17, 0xff800000
	s_waitcnt lgkmcnt(0)
	v_add_f32_e32 v15, v16, v15
	v_log_f32_e32 v16, v15
	v_mul_f32_e32 v18, 0x3f317217, v16
	v_fma_f32 v18, v16, s10, -v18
	v_fmac_f32_e32 v18, 0x3377d1cf, v16
	v_mac_f32_e32 v18, 0x3f317217, v16
	v_cmp_lt_f32_e64 s[10:11], |v16|, s11
	v_cndmask_b32_e64 v16, v16, v18, s[10:11]
	v_add_f32_e32 v2, v2, v16
	v_cmp_neq_f32_e64 s[10:11], 0, v15
	v_cndmask_b32_e64 v2, v17, v2, s[10:11]
	v_cmp_neq_f32_e64 s[10:11], s17, v2
                                        ; implicit-def: $vgpr15
	s_and_saveexec_b64 s[20:21], s[10:11]
	s_xor_b64 s[20:21], exec, s[20:21]
	s_cbranch_execnz .LBB3_39
; %bb.23:
	s_andn2_saveexec_b64 s[10:11], s[20:21]
	s_cbranch_execnz .LBB3_46
.LBB3_24:
	s_or_b64 exec, exec, s[10:11]
	s_and_saveexec_b64 s[0:1], s[36:37]
	s_cbranch_execz .LBB3_26
.LBB3_25:
	ds_write_b32 v3, v15
.LBB3_26:
	s_or_b64 exec, exec, s[0:1]
	s_mul_hi_i32 s3, s24, s7
	s_mul_i32 s2, s24, s7
	s_lshl_b64 s[2:3], s[2:3], 2
	s_mul_hi_i32 s1, s25, s8
	s_mul_i32 s0, s25, s8
	s_add_u32 s2, s34, s2
	s_addc_u32 s3, s35, s3
	s_lshl_b64 s[0:1], s[0:1], 2
	s_add_u32 s0, s2, s0
	s_addc_u32 s1, s3, s1
	s_lshl_b32 s2, s12, 2
	s_mov_b32 s3, 0x20000
	v_add_lshl_u32 v0, v8, s33, 2
	s_add_i32 s10, s12, -1
	buffer_store_dword v2, v0, s[0:3], 0 offen
	v_readfirstlane_b32 s2, v10
	; sched_barrier mask(0x00000000)
	s_mov_b32 s11, 0
	s_cmp_lt_i32 s45, 4
	v_mov_b32_e32 v3, 0
	v_mov_b32_e32 v2, 0
	;; [unrolled: 1-line block ×4, first 2 shown]
	s_waitcnt lgkmcnt(0)
	s_barrier
	s_cbranch_scc1 .LBB3_38
; %bb.27:
	s_mul_i32 s1, s15, s10
	s_mul_i32 s44, s44, s46
	;; [unrolled: 1-line block ×3, first 2 shown]
	s_add_i32 s1, s1, s13
	s_mul_hi_i32 s5, s18, s7
	s_mul_i32 s4, s18, s7
	s_lshl_b32 s12, s44, 5
	s_add_i32 s17, s1, s0
	s_lshl_b64 s[4:5], s[4:5], 2
	s_mul_hi_i32 s1, s27, s8
	s_mul_i32 s0, s27, s8
	s_add_u32 s4, s22, s4
	s_addc_u32 s5, s23, s5
	s_lshl_b64 s[0:1], s[0:1], 2
	s_add_u32 s0, s4, s0
	s_addc_u32 s1, s5, s1
	s_lshl_b32 s2, s2, 3
	s_add_i32 s2, s2, s12
	v_add_u32_e32 v12, 1, v6
	v_add_u32_e32 v14, s2, v7
	v_mul_hi_u32 v0, v12, v14
	v_add_u32_e32 v0, v14, v0
	v_add_u32_e32 v13, 1, v4
	v_lshrrev_b32_e32 v0, s43, v0
	v_mul_hi_u32 v1, v13, v0
	v_add_u32_e32 v1, v0, v1
	v_lshrrev_b32_e32 v17, s42, v1
	v_mul_lo_u32 v1, v17, s41
	v_sub_u32_e32 v18, v0, v1
	v_mul_lo_u32 v0, v0, s40
	v_sub_u32_e32 v6, v14, v0
	v_mad_u64_u32 v[0:1], s[4:5], v17, s40, v[6:7]
	v_lshl_add_u32 v2, v8, 2, s6
	v_mul_lo_u32 v3, v18, s31
	v_mul_lo_u32 v0, v0, s15
	v_add3_u32 v15, v2, v3, v0
	s_lshl_b32 s2, s17, 2
	v_mul_u32_u24_e32 v16, 0x84, v7
	v_add_u32_e32 v4, 32, v14
	s_sub_i32 s12, 0, s40
	v_mov_b32_e32 v0, 0
	v_mov_b32_e32 v19, v18
	;; [unrolled: 1-line block ×5, first 2 shown]
.LBB3_28:                               ; =>This Inner Loop Header: Depth=1
	v_cmp_gt_i32_e32 vcc, s14, v19
	v_lshlrev_b32_e32 v20, 2, v15
	v_mov_b32_e32 v8, 0
	s_and_saveexec_b64 s[4:5], vcc
	s_cbranch_execz .LBB3_30
; %bb.29:                               ;   in Loop: Header=BB3_28 Depth=1
	buffer_load_dword v8, v20, s[0:3], 0 offen
.LBB3_30:                               ;   in Loop: Header=BB3_28 Depth=1
	s_or_b64 exec, exec, s[4:5]
	v_mov_b32_e32 v9, 0
	s_and_saveexec_b64 s[4:5], vcc
	s_cbranch_execz .LBB3_32
; %bb.31:                               ;   in Loop: Header=BB3_28 Depth=1
	buffer_load_dword v9, v20, s[0:3], 0 offen offset:4
.LBB3_32:                               ;   in Loop: Header=BB3_28 Depth=1
	s_or_b64 exec, exec, s[4:5]
	v_mov_b32_e32 v21, 0
	v_mov_b32_e32 v22, 0
	s_and_saveexec_b64 s[4:5], vcc
	s_cbranch_execz .LBB3_34
; %bb.33:                               ;   in Loop: Header=BB3_28 Depth=1
	buffer_load_dword v22, v20, s[0:3], 0 offen offset:8
.LBB3_34:                               ;   in Loop: Header=BB3_28 Depth=1
	s_or_b64 exec, exec, s[4:5]
	s_and_saveexec_b64 s[4:5], vcc
	s_cbranch_execz .LBB3_36
; %bb.35:                               ;   in Loop: Header=BB3_28 Depth=1
	buffer_load_dword v21, v20, s[0:3], 0 offen offset:12
.LBB3_36:                               ;   in Loop: Header=BB3_28 Depth=1
	s_or_b64 exec, exec, s[4:5]
	v_readfirstlane_b32 s4, v10
	v_lshl_add_u32 v20, s4, 2, v16
	ds_read_b32 v20, v20
	v_add_u32_e32 v14, 32, v14
	s_add_i32 s11, s11, 4
	v_add_u32_e32 v16, 16, v16
	s_cmp_lt_i32 s11, s41
	s_waitcnt vmcnt(0) lgkmcnt(0)
	v_fmac_f32_e32 v0, v8, v20
	v_mul_hi_u32 v8, v12, v4
	v_add_u32_e32 v8, v14, v8
	v_fmac_f32_e32 v3, v21, v20
	v_lshrrev_b32_e32 v21, s43, v8
	v_fmac_f32_e32 v1, v9, v20
	v_mad_u64_u32 v[8:9], s[4:5], s12, v21, v[4:5]
	v_mul_hi_u32 v9, v13, v21
	v_add_u32_e32 v9, v21, v9
	v_lshrrev_b32_e32 v9, s42, v9
	v_sub_u32_e32 v17, v9, v17
	v_sub_u32_e32 v17, v17, v21
	v_fmac_f32_e32 v2, v22, v20
	v_mul_lo_u32 v20, v9, s41
	v_mul_lo_u32 v17, s40, v17
	v_sub_u32_e32 v20, v21, v20
	v_sub_u32_e32 v6, v17, v6
	;; [unrolled: 1-line block ×3, first 2 shown]
	v_add_u32_e32 v6, v4, v6
	v_mul_lo_u32 v17, v18, s31
	v_mul_lo_u32 v6, v6, s15
	v_add_u32_e32 v19, v18, v19
	v_add3_u32 v15, v17, v15, v6
	v_add_u32_e32 v4, 32, v4
	s_cbranch_scc0 .LBB3_38
; %bb.37:                               ;   in Loop: Header=BB3_28 Depth=1
	v_mov_b32_e32 v6, v8
	v_mov_b32_e32 v17, v9
	v_mov_b32_e32 v18, v20
	s_branch .LBB3_28
.LBB3_38:
	v_readfirstlane_b32 s2, v10
	v_and_b32_e32 v4, 28, v11
	v_lshlrev_b32_e32 v6, 2, v4
	v_lshlrev_b32_e32 v8, 4, v7
	v_add_lshl_u32 v4, s2, v4, 7
	v_add3_u32 v4, v6, v8, v4
	ds_write_b128 v4, v[0:3] offset:1052
	; sched_barrier mask(0x00000000)
	v_and_b32_e32 v0, 3, v5
	v_and_or_b32 v0, v7, 12, v0
	v_bfe_u32 v1, v5, 2, 3
	v_lshlrev_b32_e32 v0, 2, v0
	v_mul_u32_u24_e32 v1, 0x210, v1
	s_lshl_b32 s0, s2, 5
	v_add3_u32 v0, v0, v1, s0
	v_add_u32_e32 v2, 0x400, v0
	s_waitcnt lgkmcnt(0)
	s_barrier
	ds_read2_b32 v[0:1], v2 offset0:71 offset1:103
	ds_read2_b32 v[2:3], v2 offset0:7 offset1:39
	s_mul_i32 s0, s16, s10
	s_add_i32 s3, s0, s13
	s_mul_hi_i32 s1, s19, s7
	s_mul_i32 s0, s19, s7
	s_lshl_b64 s[0:1], s[0:1], 1
	s_add_u32 s4, s28, s0
	s_addc_u32 s5, s29, s1
	s_mul_hi_i32 s1, s9, s8
	s_mul_i32 s0, s9, s8
	s_waitcnt lgkmcnt(0)
	v_add_f32_e32 v2, 0, v2
	s_lshl_b64 s[0:1], s[0:1], 1
	v_add_f32_e32 v2, v3, v2
	s_add_u32 s0, s4, s0
	v_add_f32_e32 v0, v0, v2
	s_addc_u32 s1, s5, s1
	v_add_f32_e32 v0, v1, v0
	s_lshl_b32 s2, s2, 1
	v_cvt_f16_f32_e32 v0, v0
	v_lshrrev_b32_e32 v1, 5, v5
	s_add_i32 s2, s2, s33
	v_and_b32_e32 v2, 31, v5
	v_add_u32_e32 v1, s2, v1
	v_add_u32_e32 v2, s6, v2
	v_mul_lo_u32 v1, v1, s16
	s_lshl_b32 s2, s3, 1
	s_mov_b32 s3, 0x20000
	v_add_lshl_u32 v1, v2, v1, 1
	buffer_store_short v0, v1, s[0:3], 0 offen
	s_endpgm
.LBB3_39:
	s_and_saveexec_b64 s[36:37], vcc
	s_cbranch_execnz .LBB3_53
; %bb.40:
	s_or_b64 exec, exec, s[36:37]
	s_and_saveexec_b64 s[36:37], s[0:1]
	s_cbranch_execnz .LBB3_54
.LBB3_41:
	s_or_b64 exec, exec, s[36:37]
	s_and_saveexec_b64 s[36:37], s[2:3]
	s_cbranch_execz .LBB3_43
.LBB3_42:
	v_sub_f32_e32 v0, v14, v2
	s_mov_b32 s10, 0x3fb8aa3b
	v_mul_f32_e32 v1, 0x3fb8aa3b, v0
	v_fma_f32 v14, v0, s10, -v1
	v_rndne_f32_e32 v1, v1
	v_fmac_f32_e32 v14, 0x32a5705f, v0
	v_mad_f32 v15, v0, s10, -v1
	v_add_f32_e32 v14, v15, v14
	v_exp_f32_e32 v14, v14
	v_cvt_i32_f32_e32 v1, v1
	s_mov_b32 s10, 0xc2ce8ed0
	v_cmp_ngt_f32_e64 s[10:11], s10, v0
	v_lshl_add_u32 v9, v12, 2, v9
	v_ldexp_f32 v1, v14, v1
	v_cndmask_b32_e64 v1, 0, v1, s[10:11]
	s_mov_b32 s10, 0x42b17218
	v_mov_b32_e32 v12, 0x7f800000
	v_cmp_nlt_f32_e64 s[10:11], s10, v0
	v_cndmask_b32_e64 v0, v12, v1, s[10:11]
	ds_write_b32 v9, v0 offset:8
.LBB3_43:
	s_or_b64 exec, exec, s[36:37]
	s_mov_b64 s[36:37], 0
                                        ; implicit-def: $vgpr15
	s_and_saveexec_b64 s[10:11], s[4:5]
	s_xor_b64 s[38:39], exec, s[10:11]
	s_cbranch_execz .LBB3_45
; %bb.44:
	v_sub_f32_e32 v0, v13, v2
	s_mov_b32 s10, 0x3fb8aa3b
	v_mul_f32_e32 v1, 0x3fb8aa3b, v0
	v_fma_f32 v9, v0, s10, -v1
	v_rndne_f32_e32 v1, v1
	v_fmac_f32_e32 v9, 0x32a5705f, v0
	v_mad_f32 v12, v0, s10, -v1
	v_add_f32_e32 v9, v12, v9
	v_exp_f32_e32 v9, v9
	v_cvt_i32_f32_e32 v1, v1
	s_mov_b32 s10, 0xc2ce8ed0
	v_cmp_ngt_f32_e64 s[10:11], s10, v0
	s_mov_b64 s[36:37], exec
	v_ldexp_f32 v1, v9, v1
	v_cndmask_b32_e64 v1, 0, v1, s[10:11]
	s_mov_b32 s10, 0x42b17218
	v_mov_b32_e32 v9, 0x7f800000
	v_cmp_nlt_f32_e64 s[10:11], s10, v0
	v_cndmask_b32_e64 v15, v9, v1, s[10:11]
.LBB3_45:
	s_or_b64 exec, exec, s[38:39]
	s_and_b64 s[36:37], s[36:37], exec
                                        ; implicit-def: $vgpr12
                                        ; implicit-def: $vgpr9
	s_andn2_saveexec_b64 s[10:11], s[20:21]
	s_cbranch_execz .LBB3_24
.LBB3_46:
	s_and_saveexec_b64 s[20:21], vcc
	s_cbranch_execnz .LBB3_55
; %bb.47:
	s_or_b64 exec, exec, s[20:21]
	s_and_saveexec_b64 s[20:21], s[0:1]
	s_cbranch_execnz .LBB3_56
.LBB3_48:
	s_or_b64 exec, exec, s[20:21]
	s_and_saveexec_b64 s[0:1], s[2:3]
	s_cbranch_execz .LBB3_50
.LBB3_49:
	v_lshl_add_u32 v0, v12, 2, v9
	v_mov_b32_e32 v1, 0
	ds_write_b32 v0, v1 offset:8
.LBB3_50:
	s_or_b64 exec, exec, s[0:1]
	s_andn2_b64 s[0:1], s[36:37], exec
	s_and_b64 s[2:3], s[4:5], exec
	v_mov_b32_e32 v15, 0
	s_or_b64 s[36:37], s[0:1], s[2:3]
	s_or_b64 exec, exec, s[10:11]
	s_and_saveexec_b64 s[0:1], s[36:37]
	s_cbranch_execnz .LBB3_25
	s_branch .LBB3_26
.LBB3_51:
                                        ; implicit-def: $vgpr4_vgpr5
	s_branch .LBB3_6
.LBB3_52:
                                        ; implicit-def: $vgpr6_vgpr7
	s_branch .LBB3_9
.LBB3_53:
	v_sub_f32_e32 v0, v0, v2
	s_mov_b32 s10, 0x3fb8aa3b
	v_mul_f32_e32 v15, 0x3fb8aa3b, v0
	v_fma_f32 v16, v0, s10, -v15
	v_rndne_f32_e32 v15, v15
	v_fmac_f32_e32 v16, 0x32a5705f, v0
	v_mad_f32 v17, v0, s10, -v15
	v_add_f32_e32 v16, v17, v16
	v_exp_f32_e32 v16, v16
	v_cvt_i32_f32_e32 v15, v15
	s_mov_b32 s10, 0xc2ce8ed0
	v_cmp_ngt_f32_e64 s[10:11], s10, v0
	v_lshl_add_u32 v17, v12, 2, v9
	v_ldexp_f32 v15, v16, v15
	v_cndmask_b32_e64 v15, 0, v15, s[10:11]
	s_mov_b32 s10, 0x42b17218
	v_mov_b32_e32 v16, 0x7f800000
	v_cmp_nlt_f32_e64 s[10:11], s10, v0
	v_cndmask_b32_e64 v0, v16, v15, s[10:11]
	ds_write_b32 v17, v0
	s_or_b64 exec, exec, s[36:37]
	s_and_saveexec_b64 s[36:37], s[0:1]
	s_cbranch_execz .LBB3_41
.LBB3_54:
	v_sub_f32_e32 v0, v1, v2
	s_mov_b32 s10, 0x3fb8aa3b
	v_mul_f32_e32 v1, 0x3fb8aa3b, v0
	v_fma_f32 v15, v0, s10, -v1
	v_rndne_f32_e32 v1, v1
	v_fmac_f32_e32 v15, 0x32a5705f, v0
	v_mad_f32 v16, v0, s10, -v1
	v_add_f32_e32 v15, v16, v15
	v_exp_f32_e32 v15, v15
	v_cvt_i32_f32_e32 v1, v1
	s_mov_b32 s10, 0xc2ce8ed0
	v_cmp_ngt_f32_e64 s[10:11], s10, v0
	v_lshl_add_u32 v16, v12, 2, v9
	v_ldexp_f32 v1, v15, v1
	v_cndmask_b32_e64 v1, 0, v1, s[10:11]
	s_mov_b32 s10, 0x42b17218
	v_mov_b32_e32 v15, 0x7f800000
	v_cmp_nlt_f32_e64 s[10:11], s10, v0
	v_cndmask_b32_e64 v0, v15, v1, s[10:11]
	ds_write_b32 v16, v0 offset:4
	s_or_b64 exec, exec, s[36:37]
	s_and_saveexec_b64 s[36:37], s[2:3]
	s_cbranch_execnz .LBB3_42
	s_branch .LBB3_43
.LBB3_55:
	v_lshl_add_u32 v0, v12, 2, v9
	v_mov_b32_e32 v1, 0
	ds_write_b32 v0, v1
	s_or_b64 exec, exec, s[20:21]
	s_and_saveexec_b64 s[20:21], s[0:1]
	s_cbranch_execz .LBB3_48
.LBB3_56:
	v_lshl_add_u32 v0, v12, 2, v9
	v_mov_b32_e32 v1, 0
	ds_write_b32 v0, v1 offset:4
	s_or_b64 exec, exec, s[20:21]
	s_and_saveexec_b64 s[0:1], s[2:3]
	s_cbranch_execnz .LBB3_49
	s_branch .LBB3_50
	.section	.rodata,"a",@progbits
	.p2align	6, 0x0
	.amdhsa_kernel _ZN7ck_tile6kentryINS_6gfx9_tELi3ENS_27FmhaFwdSplitKVCombineKernelINS_34BlockFmhaFwdSplitKVCombinePipelineINS_38BlockFmhaSplitKVCombinePipelineProblemIffDF16_Li128ELb0ELi32ENS_31TileFmhaFwdSplitKVCombineTraitsILb0ELb0ELb1ELb0ELi5ELin1EEEEENS_47BlockFmhaFwdSplitKVCombinePipelineDefaultPolicyEEENS_17Default2DEpilogueINS_24Default2DEpilogueProblemIfDF16_Lb0ELb0ELb1EEEvEEEEJNSE_14BatchModeKargsEEEENSt9enable_ifIXnt26kattr_no_packed_fp32_ops_vIT_EEvE4typeEDpT2_
		.amdhsa_group_segment_fixed_size 5260
		.amdhsa_private_segment_fixed_size 0
		.amdhsa_kernarg_size 104
		.amdhsa_user_sgpr_count 6
		.amdhsa_user_sgpr_private_segment_buffer 1
		.amdhsa_user_sgpr_dispatch_ptr 0
		.amdhsa_user_sgpr_queue_ptr 0
		.amdhsa_user_sgpr_kernarg_segment_ptr 1
		.amdhsa_user_sgpr_dispatch_id 0
		.amdhsa_user_sgpr_flat_scratch_init 0
		.amdhsa_user_sgpr_kernarg_preload_length 0
		.amdhsa_user_sgpr_kernarg_preload_offset 0
		.amdhsa_user_sgpr_private_segment_size 0
		.amdhsa_uses_dynamic_stack 0
		.amdhsa_system_sgpr_private_segment_wavefront_offset 0
		.amdhsa_system_sgpr_workgroup_id_x 1
		.amdhsa_system_sgpr_workgroup_id_y 1
		.amdhsa_system_sgpr_workgroup_id_z 1
		.amdhsa_system_sgpr_workgroup_info 0
		.amdhsa_system_vgpr_workitem_id 0
		.amdhsa_next_free_vgpr 27
		.amdhsa_next_free_sgpr 48
		.amdhsa_accum_offset 28
		.amdhsa_reserve_vcc 1
		.amdhsa_reserve_flat_scratch 0
		.amdhsa_float_round_mode_32 0
		.amdhsa_float_round_mode_16_64 0
		.amdhsa_float_denorm_mode_32 0
		.amdhsa_float_denorm_mode_16_64 3
		.amdhsa_dx10_clamp 1
		.amdhsa_ieee_mode 1
		.amdhsa_fp16_overflow 0
		.amdhsa_tg_split 0
		.amdhsa_exception_fp_ieee_invalid_op 0
		.amdhsa_exception_fp_denorm_src 0
		.amdhsa_exception_fp_ieee_div_zero 0
		.amdhsa_exception_fp_ieee_overflow 0
		.amdhsa_exception_fp_ieee_underflow 0
		.amdhsa_exception_fp_ieee_inexact 0
		.amdhsa_exception_int_div_zero 0
	.end_amdhsa_kernel
	.section	.text._ZN7ck_tile6kentryINS_6gfx9_tELi3ENS_27FmhaFwdSplitKVCombineKernelINS_34BlockFmhaFwdSplitKVCombinePipelineINS_38BlockFmhaSplitKVCombinePipelineProblemIffDF16_Li128ELb0ELi32ENS_31TileFmhaFwdSplitKVCombineTraitsILb0ELb0ELb1ELb0ELi5ELin1EEEEENS_47BlockFmhaFwdSplitKVCombinePipelineDefaultPolicyEEENS_17Default2DEpilogueINS_24Default2DEpilogueProblemIfDF16_Lb0ELb0ELb1EEEvEEEEJNSE_14BatchModeKargsEEEENSt9enable_ifIXnt26kattr_no_packed_fp32_ops_vIT_EEvE4typeEDpT2_,"axG",@progbits,_ZN7ck_tile6kentryINS_6gfx9_tELi3ENS_27FmhaFwdSplitKVCombineKernelINS_34BlockFmhaFwdSplitKVCombinePipelineINS_38BlockFmhaSplitKVCombinePipelineProblemIffDF16_Li128ELb0ELi32ENS_31TileFmhaFwdSplitKVCombineTraitsILb0ELb0ELb1ELb0ELi5ELin1EEEEENS_47BlockFmhaFwdSplitKVCombinePipelineDefaultPolicyEEENS_17Default2DEpilogueINS_24Default2DEpilogueProblemIfDF16_Lb0ELb0ELb1EEEvEEEEJNSE_14BatchModeKargsEEEENSt9enable_ifIXnt26kattr_no_packed_fp32_ops_vIT_EEvE4typeEDpT2_,comdat
.Lfunc_end3:
	.size	_ZN7ck_tile6kentryINS_6gfx9_tELi3ENS_27FmhaFwdSplitKVCombineKernelINS_34BlockFmhaFwdSplitKVCombinePipelineINS_38BlockFmhaSplitKVCombinePipelineProblemIffDF16_Li128ELb0ELi32ENS_31TileFmhaFwdSplitKVCombineTraitsILb0ELb0ELb1ELb0ELi5ELin1EEEEENS_47BlockFmhaFwdSplitKVCombinePipelineDefaultPolicyEEENS_17Default2DEpilogueINS_24Default2DEpilogueProblemIfDF16_Lb0ELb0ELb1EEEvEEEEJNSE_14BatchModeKargsEEEENSt9enable_ifIXnt26kattr_no_packed_fp32_ops_vIT_EEvE4typeEDpT2_, .Lfunc_end3-_ZN7ck_tile6kentryINS_6gfx9_tELi3ENS_27FmhaFwdSplitKVCombineKernelINS_34BlockFmhaFwdSplitKVCombinePipelineINS_38BlockFmhaSplitKVCombinePipelineProblemIffDF16_Li128ELb0ELi32ENS_31TileFmhaFwdSplitKVCombineTraitsILb0ELb0ELb1ELb0ELi5ELin1EEEEENS_47BlockFmhaFwdSplitKVCombinePipelineDefaultPolicyEEENS_17Default2DEpilogueINS_24Default2DEpilogueProblemIfDF16_Lb0ELb0ELb1EEEvEEEEJNSE_14BatchModeKargsEEEENSt9enable_ifIXnt26kattr_no_packed_fp32_ops_vIT_EEvE4typeEDpT2_
                                        ; -- End function
	.section	.AMDGPU.csdata,"",@progbits
; Kernel info:
; codeLenInByte = 4284
; NumSgprs: 52
; NumVgprs: 27
; NumAgprs: 0
; TotalNumVgprs: 27
; ScratchSize: 0
; MemoryBound: 0
; FloatMode: 192
; IeeeMode: 1
; LDSByteSize: 5260 bytes/workgroup (compile time only)
; SGPRBlocks: 6
; VGPRBlocks: 3
; NumSGPRsForWavesPerEU: 52
; NumVGPRsForWavesPerEU: 27
; AccumOffset: 28
; Occupancy: 8
; WaveLimiterHint : 0
; COMPUTE_PGM_RSRC2:SCRATCH_EN: 0
; COMPUTE_PGM_RSRC2:USER_SGPR: 6
; COMPUTE_PGM_RSRC2:TRAP_HANDLER: 0
; COMPUTE_PGM_RSRC2:TGID_X_EN: 1
; COMPUTE_PGM_RSRC2:TGID_Y_EN: 1
; COMPUTE_PGM_RSRC2:TGID_Z_EN: 1
; COMPUTE_PGM_RSRC2:TIDIG_COMP_CNT: 0
; COMPUTE_PGM_RSRC3_GFX90A:ACCUM_OFFSET: 6
; COMPUTE_PGM_RSRC3_GFX90A:TG_SPLIT: 0
	.section	.text._ZN7ck_tile6kentryINS_6gfx9_tELi2ENS_27FmhaFwdSplitKVCombineKernelINS_34BlockFmhaFwdSplitKVCombinePipelineINS_38BlockFmhaSplitKVCombinePipelineProblemIffDF16_Li128ELb0ELi32ENS_31TileFmhaFwdSplitKVCombineTraitsILb0ELb0ELb1ELb0ELi6ELin1EEEEENS_47BlockFmhaFwdSplitKVCombinePipelineDefaultPolicyEEENS_17Default2DEpilogueINS_24Default2DEpilogueProblemIfDF16_Lb0ELb0ELb1EEEvEEEEJNSE_14BatchModeKargsEEEENSt9enable_ifIXnt26kattr_no_packed_fp32_ops_vIT_EEvE4typeEDpT2_,"axG",@progbits,_ZN7ck_tile6kentryINS_6gfx9_tELi2ENS_27FmhaFwdSplitKVCombineKernelINS_34BlockFmhaFwdSplitKVCombinePipelineINS_38BlockFmhaSplitKVCombinePipelineProblemIffDF16_Li128ELb0ELi32ENS_31TileFmhaFwdSplitKVCombineTraitsILb0ELb0ELb1ELb0ELi6ELin1EEEEENS_47BlockFmhaFwdSplitKVCombinePipelineDefaultPolicyEEENS_17Default2DEpilogueINS_24Default2DEpilogueProblemIfDF16_Lb0ELb0ELb1EEEvEEEEJNSE_14BatchModeKargsEEEENSt9enable_ifIXnt26kattr_no_packed_fp32_ops_vIT_EEvE4typeEDpT2_,comdat
	.protected	_ZN7ck_tile6kentryINS_6gfx9_tELi2ENS_27FmhaFwdSplitKVCombineKernelINS_34BlockFmhaFwdSplitKVCombinePipelineINS_38BlockFmhaSplitKVCombinePipelineProblemIffDF16_Li128ELb0ELi32ENS_31TileFmhaFwdSplitKVCombineTraitsILb0ELb0ELb1ELb0ELi6ELin1EEEEENS_47BlockFmhaFwdSplitKVCombinePipelineDefaultPolicyEEENS_17Default2DEpilogueINS_24Default2DEpilogueProblemIfDF16_Lb0ELb0ELb1EEEvEEEEJNSE_14BatchModeKargsEEEENSt9enable_ifIXnt26kattr_no_packed_fp32_ops_vIT_EEvE4typeEDpT2_ ; -- Begin function _ZN7ck_tile6kentryINS_6gfx9_tELi2ENS_27FmhaFwdSplitKVCombineKernelINS_34BlockFmhaFwdSplitKVCombinePipelineINS_38BlockFmhaSplitKVCombinePipelineProblemIffDF16_Li128ELb0ELi32ENS_31TileFmhaFwdSplitKVCombineTraitsILb0ELb0ELb1ELb0ELi6ELin1EEEEENS_47BlockFmhaFwdSplitKVCombinePipelineDefaultPolicyEEENS_17Default2DEpilogueINS_24Default2DEpilogueProblemIfDF16_Lb0ELb0ELb1EEEvEEEEJNSE_14BatchModeKargsEEEENSt9enable_ifIXnt26kattr_no_packed_fp32_ops_vIT_EEvE4typeEDpT2_
	.globl	_ZN7ck_tile6kentryINS_6gfx9_tELi2ENS_27FmhaFwdSplitKVCombineKernelINS_34BlockFmhaFwdSplitKVCombinePipelineINS_38BlockFmhaSplitKVCombinePipelineProblemIffDF16_Li128ELb0ELi32ENS_31TileFmhaFwdSplitKVCombineTraitsILb0ELb0ELb1ELb0ELi6ELin1EEEEENS_47BlockFmhaFwdSplitKVCombinePipelineDefaultPolicyEEENS_17Default2DEpilogueINS_24Default2DEpilogueProblemIfDF16_Lb0ELb0ELb1EEEvEEEEJNSE_14BatchModeKargsEEEENSt9enable_ifIXnt26kattr_no_packed_fp32_ops_vIT_EEvE4typeEDpT2_
	.p2align	8
	.type	_ZN7ck_tile6kentryINS_6gfx9_tELi2ENS_27FmhaFwdSplitKVCombineKernelINS_34BlockFmhaFwdSplitKVCombinePipelineINS_38BlockFmhaSplitKVCombinePipelineProblemIffDF16_Li128ELb0ELi32ENS_31TileFmhaFwdSplitKVCombineTraitsILb0ELb0ELb1ELb0ELi6ELin1EEEEENS_47BlockFmhaFwdSplitKVCombinePipelineDefaultPolicyEEENS_17Default2DEpilogueINS_24Default2DEpilogueProblemIfDF16_Lb0ELb0ELb1EEEvEEEEJNSE_14BatchModeKargsEEEENSt9enable_ifIXnt26kattr_no_packed_fp32_ops_vIT_EEvE4typeEDpT2_,@function
_ZN7ck_tile6kentryINS_6gfx9_tELi2ENS_27FmhaFwdSplitKVCombineKernelINS_34BlockFmhaFwdSplitKVCombinePipelineINS_38BlockFmhaSplitKVCombinePipelineProblemIffDF16_Li128ELb0ELi32ENS_31TileFmhaFwdSplitKVCombineTraitsILb0ELb0ELb1ELb0ELi6ELin1EEEEENS_47BlockFmhaFwdSplitKVCombinePipelineDefaultPolicyEEENS_17Default2DEpilogueINS_24Default2DEpilogueProblemIfDF16_Lb0ELb0ELb1EEEvEEEEJNSE_14BatchModeKargsEEEENSt9enable_ifIXnt26kattr_no_packed_fp32_ops_vIT_EEvE4typeEDpT2_: ; @_ZN7ck_tile6kentryINS_6gfx9_tELi2ENS_27FmhaFwdSplitKVCombineKernelINS_34BlockFmhaFwdSplitKVCombinePipelineINS_38BlockFmhaSplitKVCombinePipelineProblemIffDF16_Li128ELb0ELi32ENS_31TileFmhaFwdSplitKVCombineTraitsILb0ELb0ELb1ELb0ELi6ELin1EEEEENS_47BlockFmhaFwdSplitKVCombinePipelineDefaultPolicyEEENS_17Default2DEpilogueINS_24Default2DEpilogueProblemIfDF16_Lb0ELb0ELb1EEEvEEEEJNSE_14BatchModeKargsEEEENSt9enable_ifIXnt26kattr_no_packed_fp32_ops_vIT_EEvE4typeEDpT2_
; %bb.0:
	s_load_dwordx8 s[20:27], s[4:5], 0x1c
	s_load_dwordx4 s[28:31], s[4:5], 0x0
	s_load_dwordx2 s[34:35], s[4:5], 0x10
	s_load_dwordx2 s[40:41], s[4:5], 0x3c
	;; [unrolled: 1-line block ×3, first 2 shown]
	s_load_dword s9, s[4:5], 0x60
	s_load_dwordx4 s[36:39], s[4:5], 0x50
	s_ashr_i32 s2, s6, 31
	s_mov_b32 s50, -1
	s_waitcnt lgkmcnt(0)
	s_add_i32 s0, s21, 31
	s_ashr_i32 s1, s0, 31
	s_lshr_b32 s1, s1, 27
	s_add_i32 s3, s0, s1
	s_ashr_i32 s0, s3, 5
	s_abs_i32 s1, s0
	v_cvt_f32_u32_e32 v1, s1
	s_sub_i32 s5, 0, s1
	s_ashr_i32 s4, s3, 31
	s_abs_i32 s3, s6
	v_rcp_iflag_f32_e32 v1, v1
	s_add_i32 s53, s22, 3
	v_mul_f32_e32 v1, 0x4f7ffffe, v1
	v_cvt_u32_f32_e32 v1, v1
	v_readfirstlane_b32 s10, v1
	s_mul_i32 s5, s5, s10
	s_mul_hi_u32 s5, s10, s5
	s_add_i32 s10, s10, s5
	s_mul_hi_u32 s5, s3, s10
	s_getpc_b64 s[10:11]
	s_add_u32 s10, s10, _ZN7ck_tile34BlockFmhaFwdSplitKVCombinePipelineINS_38BlockFmhaSplitKVCombinePipelineProblemIffDF16_Li128ELb0ELi32ENS_31TileFmhaFwdSplitKVCombineTraitsILb0ELb0ELb1ELb0ELi6ELin1EEEEENS_47BlockFmhaFwdSplitKVCombinePipelineDefaultPolicyEE3kM0E@rel32@lo+4
	s_addc_u32 s11, s11, _ZN7ck_tile34BlockFmhaFwdSplitKVCombinePipelineINS_38BlockFmhaSplitKVCombinePipelineProblemIffDF16_Li128ELb0ELi32ENS_31TileFmhaFwdSplitKVCombineTraitsILb0ELb0ELb1ELb0ELi6ELin1EEEEENS_47BlockFmhaFwdSplitKVCombinePipelineDefaultPolicyEE3kM0E@rel32@hi+12
	s_load_dword s48, s[10:11], 0x0
	s_ashr_i32 s10, s53, 31
	s_lshr_b32 s10, s10, 30
	s_add_i32 s10, s53, s10
	s_ashr_i32 s52, s10, 2
	s_and_b32 s49, s10, -4
.LBB4_1:                                ; =>This Inner Loop Header: Depth=1
	s_add_i32 s50, s50, 1
	s_lshl_b32 s10, 1, s50
	s_cmp_lt_u32 s10, s49
	s_cbranch_scc1 .LBB4_1
; %bb.2:
	s_mov_b32 s51, -1
.LBB4_3:                                ; =>This Inner Loop Header: Depth=1
	s_add_i32 s51, s51, 1
	s_lshl_b32 s10, 1, s51
	s_waitcnt lgkmcnt(0)
	s_cmp_lt_u32 s10, s48
	s_cbranch_scc1 .LBB4_3
; %bb.4:
	s_xor_b32 s2, s2, s4
	s_mul_i32 s4, s5, s1
	s_sub_i32 s3, s3, s4
	s_add_i32 s4, s5, 1
	s_sub_i32 s10, s3, s1
	s_cmp_ge_u32 s3, s1
	s_cselect_b32 s4, s4, s5
	s_cselect_b32 s3, s10, s3
	s_add_i32 s5, s4, 1
	s_cmp_ge_u32 s3, s1
	s_cselect_b32 s1, s5, s4
	s_xor_b32 s1, s1, s2
	s_sub_i32 s54, s1, s2
	s_mul_i32 s0, s54, s0
	s_sub_i32 s0, s6, s0
	s_lshl_b32 s6, s0, 5
	s_lshl_b64 s[0:1], 1, s50
	s_lshl_b32 s33, s54, 3
	s_mov_b32 s2, 0
	s_sub_i32 s3, s0, s49
	s_cmp_lg_u64 s[2:3], 0
	s_cbranch_scc0 .LBB4_67
; %bb.5:
	v_cvt_f32_u32_e32 v1, s49
	v_mov_b32_e32 v2, 0x4f800000
	s_sub_u32 s2, 0, s49
	s_subb_u32 s4, 0, 0
	v_mac_f32_e32 v1, 0, v2
	v_rcp_f32_e32 v1, v1
	v_mul_f32_e32 v1, 0x5f7ffffc, v1
	v_mul_f32_e32 v2, 0x2f800000, v1
	v_trunc_f32_e32 v2, v2
	v_madmk_f32 v1, v2, 0xcf800000, v1
	v_cvt_u32_f32_e32 v2, v2
	v_cvt_u32_f32_e32 v1, v1
	v_readfirstlane_b32 s5, v2
	v_readfirstlane_b32 s10, v1
	s_mul_i32 s11, s2, s5
	s_mul_hi_u32 s13, s2, s10
	s_mul_i32 s12, s4, s10
	s_add_i32 s11, s13, s11
	s_add_i32 s11, s11, s12
	s_mul_i32 s14, s2, s10
	s_mul_hi_u32 s12, s10, s11
	s_mul_i32 s13, s10, s11
	s_mul_hi_u32 s10, s10, s14
	s_add_u32 s10, s10, s13
	s_addc_u32 s12, 0, s12
	s_mul_hi_u32 s15, s5, s14
	s_mul_i32 s14, s5, s14
	s_add_u32 s10, s10, s14
	s_mul_hi_u32 s13, s5, s11
	s_addc_u32 s10, s12, s15
	s_addc_u32 s12, s13, 0
	s_mul_i32 s11, s5, s11
	s_add_u32 s10, s10, s11
	s_addc_u32 s11, 0, s12
	v_add_co_u32_e32 v1, vcc, s10, v1
	s_cmp_lg_u64 vcc, 0
	s_addc_u32 s5, s5, s11
	v_readfirstlane_b32 s11, v1
	s_mul_i32 s10, s2, s5
	s_mul_hi_u32 s12, s2, s11
	s_add_i32 s10, s12, s10
	s_mul_i32 s4, s4, s11
	s_add_i32 s10, s10, s4
	s_mul_i32 s2, s2, s11
	s_mul_hi_u32 s12, s5, s2
	s_mul_i32 s13, s5, s2
	s_mul_i32 s15, s11, s10
	s_mul_hi_u32 s2, s11, s2
	s_mul_hi_u32 s14, s11, s10
	s_add_u32 s2, s2, s15
	s_addc_u32 s11, 0, s14
	s_add_u32 s2, s2, s13
	s_mul_hi_u32 s4, s5, s10
	s_addc_u32 s2, s11, s12
	s_addc_u32 s4, s4, 0
	s_mul_i32 s10, s5, s10
	s_add_u32 s2, s2, s10
	s_addc_u32 s4, 0, s4
	v_add_co_u32_e32 v1, vcc, s2, v1
	s_cmp_lg_u64 vcc, 0
	s_addc_u32 s2, s5, s4
	v_readfirstlane_b32 s10, v1
	s_mul_i32 s5, s2, 0
	s_mul_hi_u32 s11, 0, s10
	s_mul_hi_u32 s4, 0, s2
	s_add_u32 s5, s11, s5
	s_addc_u32 s4, 0, s4
	s_mul_hi_u32 s12, s3, s10
	s_mul_i32 s10, s3, s10
	s_add_u32 s5, s5, s10
	s_mul_hi_u32 s11, s3, s2
	s_addc_u32 s4, s4, s12
	s_addc_u32 s5, s11, 0
	s_mul_i32 s2, s3, s2
	s_add_u32 s2, s4, s2
	s_addc_u32 s4, 0, s5
	s_mul_i32 s4, s49, s4
	s_mul_hi_u32 s5, s49, s2
	s_add_i32 s12, s5, s4
	s_mul_i32 s4, s49, s2
	s_add_u32 s10, s2, 1
	s_add_u32 s11, s2, 2
	v_sub_co_u32_e64 v1, s[4:5], 0, s4
	s_cmp_lg_u64 s[4:5], 0
	s_subb_u32 s3, s3, s12
	v_subrev_co_u32_e32 v2, vcc, s49, v1
	s_cmp_lg_u64 vcc, 0
	s_subb_u32 s4, s3, 0
	v_cmp_le_u32_e32 vcc, s49, v2
	s_cmp_eq_u32 s4, 0
	v_cndmask_b32_e64 v2, 0, -1, vcc
	s_cselect_b64 vcc, -1, 0
	v_cndmask_b32_e32 v2, -1, v2, vcc
	v_mov_b32_e32 v3, s10
	v_mov_b32_e32 v4, s11
	v_cmp_ne_u32_e32 vcc, 0, v2
	v_cndmask_b32_e32 v2, v3, v4, vcc
	v_cmp_le_u32_e32 vcc, s49, v1
	s_cmp_eq_u32 s3, 0
	v_cndmask_b32_e64 v1, 0, -1, vcc
	s_cselect_b64 vcc, -1, 0
	v_cndmask_b32_e32 v1, -1, v1, vcc
	v_mov_b32_e32 v3, s2
	v_cmp_ne_u32_e32 vcc, 0, v1
	v_cndmask_b32_e32 v4, v3, v2, vcc
	s_cbranch_execnz .LBB4_7
.LBB4_6:
	v_cvt_f32_u32_e32 v1, s49
	s_sub_i32 s0, 0, s49
	s_mov_b32 s1, 0
	v_rcp_iflag_f32_e32 v1, v1
	v_mul_f32_e32 v1, 0x4f7ffffe, v1
	v_cvt_u32_f32_e32 v1, v1
	v_readfirstlane_b32 s2, v1
	s_mul_i32 s0, s0, s2
	s_mul_hi_u32 s0, s2, s0
	s_add_i32 s2, s2, s0
	s_mul_hi_u32 s0, 0, s2
	s_mul_i32 s3, s0, s49
	s_sub_i32 s3, 0, s3
	s_add_i32 s2, s0, 1
	s_sub_i32 s4, s3, s49
	s_cmp_ge_u32 s3, s49
	s_cselect_b32 s0, s2, s0
	s_cselect_b32 s3, s4, s3
	s_add_i32 s2, s0, 1
	s_cmp_ge_u32 s3, s49
	s_cselect_b32 s0, s2, s0
	v_pk_mov_b32 v[4:5], s[0:1], s[0:1] op_sel:[0,1]
.LBB4_7:
	s_lshl_b64 s[0:1], 1, s51
	s_mov_b32 s2, 0
	s_sub_i32 s3, s0, s48
	s_cmp_lg_u64 s[2:3], 0
	s_cbranch_scc0 .LBB4_68
; %bb.8:
	v_cvt_f32_u32_e32 v1, s48
	v_mov_b32_e32 v2, 0x4f800000
	s_sub_u32 s2, 0, s48
	s_subb_u32 s4, 0, 0
	v_mac_f32_e32 v1, 0, v2
	v_rcp_f32_e32 v1, v1
	v_mul_f32_e32 v1, 0x5f7ffffc, v1
	v_mul_f32_e32 v2, 0x2f800000, v1
	v_trunc_f32_e32 v2, v2
	v_madmk_f32 v1, v2, 0xcf800000, v1
	v_cvt_u32_f32_e32 v2, v2
	v_cvt_u32_f32_e32 v1, v1
	v_readfirstlane_b32 s5, v2
	v_readfirstlane_b32 s10, v1
	s_mul_i32 s11, s2, s5
	s_mul_hi_u32 s13, s2, s10
	s_mul_i32 s12, s4, s10
	s_add_i32 s11, s13, s11
	s_add_i32 s11, s11, s12
	s_mul_i32 s14, s2, s10
	s_mul_hi_u32 s12, s10, s11
	s_mul_i32 s13, s10, s11
	s_mul_hi_u32 s10, s10, s14
	s_add_u32 s10, s10, s13
	s_addc_u32 s12, 0, s12
	s_mul_hi_u32 s15, s5, s14
	s_mul_i32 s14, s5, s14
	s_add_u32 s10, s10, s14
	s_mul_hi_u32 s13, s5, s11
	s_addc_u32 s10, s12, s15
	s_addc_u32 s12, s13, 0
	s_mul_i32 s11, s5, s11
	s_add_u32 s10, s10, s11
	s_addc_u32 s11, 0, s12
	v_add_co_u32_e32 v1, vcc, s10, v1
	s_cmp_lg_u64 vcc, 0
	s_addc_u32 s5, s5, s11
	v_readfirstlane_b32 s11, v1
	s_mul_i32 s10, s2, s5
	s_mul_hi_u32 s12, s2, s11
	s_add_i32 s10, s12, s10
	s_mul_i32 s4, s4, s11
	s_add_i32 s10, s10, s4
	s_mul_i32 s2, s2, s11
	s_mul_hi_u32 s12, s5, s2
	s_mul_i32 s13, s5, s2
	s_mul_i32 s15, s11, s10
	s_mul_hi_u32 s2, s11, s2
	s_mul_hi_u32 s14, s11, s10
	s_add_u32 s2, s2, s15
	s_addc_u32 s11, 0, s14
	s_add_u32 s2, s2, s13
	s_mul_hi_u32 s4, s5, s10
	s_addc_u32 s2, s11, s12
	s_addc_u32 s4, s4, 0
	s_mul_i32 s10, s5, s10
	s_add_u32 s2, s2, s10
	s_addc_u32 s4, 0, s4
	v_add_co_u32_e32 v1, vcc, s2, v1
	s_cmp_lg_u64 vcc, 0
	s_addc_u32 s2, s5, s4
	v_readfirstlane_b32 s10, v1
	s_mul_i32 s5, s2, 0
	s_mul_hi_u32 s11, 0, s10
	s_mul_hi_u32 s4, 0, s2
	s_add_u32 s5, s11, s5
	s_addc_u32 s4, 0, s4
	s_mul_hi_u32 s12, s3, s10
	s_mul_i32 s10, s3, s10
	s_add_u32 s5, s5, s10
	s_mul_hi_u32 s11, s3, s2
	s_addc_u32 s4, s4, s12
	s_addc_u32 s5, s11, 0
	s_mul_i32 s2, s3, s2
	s_add_u32 s2, s4, s2
	s_addc_u32 s4, 0, s5
	s_mul_i32 s4, s48, s4
	s_mul_hi_u32 s5, s48, s2
	s_add_i32 s12, s5, s4
	s_mul_i32 s4, s48, s2
	s_add_u32 s10, s2, 1
	s_add_u32 s11, s2, 2
	v_sub_co_u32_e64 v1, s[4:5], 0, s4
	s_cmp_lg_u64 s[4:5], 0
	s_subb_u32 s3, s3, s12
	v_subrev_co_u32_e32 v2, vcc, s48, v1
	s_cmp_lg_u64 vcc, 0
	s_subb_u32 s4, s3, 0
	v_cmp_le_u32_e32 vcc, s48, v2
	s_cmp_eq_u32 s4, 0
	v_cndmask_b32_e64 v2, 0, -1, vcc
	s_cselect_b64 vcc, -1, 0
	v_cndmask_b32_e32 v2, -1, v2, vcc
	v_mov_b32_e32 v3, s10
	v_mov_b32_e32 v5, s11
	v_cmp_ne_u32_e32 vcc, 0, v2
	v_cndmask_b32_e32 v2, v3, v5, vcc
	v_cmp_le_u32_e32 vcc, s48, v1
	s_cmp_eq_u32 s3, 0
	v_cndmask_b32_e64 v1, 0, -1, vcc
	s_cselect_b64 vcc, -1, 0
	v_cndmask_b32_e32 v1, -1, v1, vcc
	v_mov_b32_e32 v3, s2
	v_cmp_ne_u32_e32 vcc, 0, v1
	v_cndmask_b32_e32 v6, v3, v2, vcc
	s_cbranch_execnz .LBB4_10
.LBB4_9:
	v_cvt_f32_u32_e32 v1, s48
	s_sub_i32 s0, 0, s48
	s_mov_b32 s1, 0
	v_rcp_iflag_f32_e32 v1, v1
	v_mul_f32_e32 v1, 0x4f7ffffe, v1
	v_cvt_u32_f32_e32 v1, v1
	v_readfirstlane_b32 s2, v1
	s_mul_i32 s0, s0, s2
	s_mul_hi_u32 s0, s2, s0
	s_add_i32 s2, s2, s0
	s_mul_hi_u32 s0, 0, s2
	s_mul_i32 s3, s0, s48
	s_sub_i32 s3, 0, s3
	s_add_i32 s2, s0, 1
	s_sub_i32 s4, s3, s48
	s_cmp_ge_u32 s3, s48
	s_cselect_b32 s0, s2, s0
	s_cselect_b32 s3, s4, s3
	s_add_i32 s2, s0, 1
	s_cmp_ge_u32 s3, s48
	s_cselect_b32 s0, s2, s0
	v_pk_mov_b32 v[6:7], s[0:1], s[0:1] op_sel:[0,1]
.LBB4_10:
	v_lshrrev_b32_e32 v10, 6, v0
	v_readfirstlane_b32 s0, v10
	v_mbcnt_lo_u32_b32 v0, -1, 0
	v_mbcnt_hi_u32_b32 v5, -1, v0
	s_lshl_b32 s0, s0, 4
	v_lshrrev_b32_e32 v2, 2, v5
	s_and_b32 s0, s0, 48
	v_add_u32_e32 v3, s0, v2
	s_add_i32 s55, s22, -1
	v_and_b32_e32 v7, 3, v5
	v_cmp_gt_i32_e32 vcc, s22, v3
	v_mov_b32_e32 v0, 0
	v_mov_b32_e32 v1, 0
	s_and_saveexec_b64 s[0:1], vcc
	s_cbranch_execz .LBB4_12
; %bb.11:
	s_mul_hi_i32 s5, s25, s7
	s_mul_i32 s4, s25, s7
	s_lshl_b64 s[4:5], s[4:5], 2
	s_mul_hi_i32 s3, s38, s8
	s_mul_i32 s2, s38, s8
	s_add_u32 s4, s28, s4
	s_addc_u32 s5, s29, s5
	s_lshl_b64 s[2:3], s[2:3], 2
	s_add_u32 s12, s4, s2
	s_mul_i32 s2, s40, s55
	s_addc_u32 s13, s5, s3
	s_add_i32 s2, s2, s20
	v_mul_lo_u32 v0, v3, s40
	v_lshl_add_u32 v1, v7, 1, s33
	s_lshl_b32 s14, s2, 2
	s_mov_b32 s15, 0x20000
	v_add_lshl_u32 v0, v1, v0, 2
	buffer_load_dwordx2 v[0:1], v0, s[12:15], 0 offen
.LBB4_12:
	s_or_b64 exec, exec, s[0:1]
	v_readfirstlane_b32 s0, v10
	s_lshl_b32 s0, s0, 4
	s_and_b32 s0, s0, 48
	v_add_u32_e32 v2, s0, v2
	v_mul_u32_u24_e32 v3, 0x208, v7
	v_lshl_add_u32 v2, v2, 3, v3
	s_waitcnt vmcnt(0)
	ds_write_b64 v2, v[0:1]
	; sched_barrier mask(0x00000000)
	v_and_b32_e32 v22, 0x78, v5
	v_cmp_gt_i32_e32 vcc, s22, v22
	v_mov_b32_e32 v1, 0xff800000
	v_bfe_u32 v3, v5, 1, 2
	v_mov_b32_e32 v0, 0xff800000
	s_waitcnt lgkmcnt(0)
	s_barrier
	s_and_saveexec_b64 s[0:1], vcc
	s_cbranch_execz .LBB4_14
; %bb.13:
	v_lshlrev_b32_e32 v0, 1, v22
	s_movk_i32 s2, 0x82
	v_mad_u32_u24 v0, v3, s2, v0
	v_and_or_b32 v0, v5, 1, v0
	v_lshlrev_b32_e32 v0, 2, v0
	ds_read_b32 v0, v0
.LBB4_14:
	s_or_b64 exec, exec, s[0:1]
	v_or_b32_e32 v18, 1, v22
	v_cmp_gt_i32_e64 s[0:1], s22, v18
	s_and_saveexec_b64 s[2:3], s[0:1]
	s_cbranch_execz .LBB4_16
; %bb.15:
	v_mul_u32_u24_e32 v1, 0x82, v3
	v_lshl_add_u32 v1, v18, 1, v1
	v_and_or_b32 v1, v5, 1, v1
	v_lshlrev_b32_e32 v1, 2, v1
	ds_read_b32 v1, v1
.LBB4_16:
	s_or_b64 exec, exec, s[2:3]
	v_or_b32_e32 v16, 2, v22
	v_cmp_gt_i32_e64 s[2:3], s22, v16
	v_mov_b32_e32 v20, 0xff800000
	v_mov_b32_e32 v23, 0xff800000
	s_and_saveexec_b64 s[4:5], s[2:3]
	s_cbranch_execz .LBB4_18
; %bb.17:
	v_mul_u32_u24_e32 v2, 0x82, v3
	v_lshl_add_u32 v2, v16, 1, v2
	v_and_or_b32 v2, v5, 1, v2
	v_lshlrev_b32_e32 v2, 2, v2
	ds_read_b32 v23, v2
.LBB4_18:
	s_or_b64 exec, exec, s[4:5]
	v_or_b32_e32 v14, 3, v22
	v_cmp_gt_i32_e64 s[4:5], s22, v14
	s_and_saveexec_b64 s[10:11], s[4:5]
	s_cbranch_execz .LBB4_20
; %bb.19:
	v_mul_u32_u24_e32 v2, 0x82, v3
	v_lshl_add_u32 v2, v14, 1, v2
	v_and_or_b32 v2, v5, 1, v2
	v_lshlrev_b32_e32 v2, 2, v2
	ds_read_b32 v20, v2
.LBB4_20:
	s_or_b64 exec, exec, s[10:11]
	v_or_b32_e32 v13, 4, v22
	v_cmp_gt_i32_e64 s[16:17], s22, v13
	v_mov_b32_e32 v17, 0xff800000
	v_mov_b32_e32 v21, 0xff800000
	s_and_saveexec_b64 s[10:11], s[16:17]
	s_cbranch_execz .LBB4_22
; %bb.21:
	v_mul_u32_u24_e32 v2, 0x82, v3
	v_lshl_add_u32 v2, v13, 1, v2
	v_and_or_b32 v2, v5, 1, v2
	v_lshlrev_b32_e32 v2, 2, v2
	ds_read_b32 v21, v2
.LBB4_22:
	;; [unrolled: 26-line block ×3, first 2 shown]
	s_or_b64 exec, exec, s[12:13]
	v_or_b32_e32 v2, 7, v5
	v_cmp_gt_i32_e64 s[12:13], s22, v2
	v_lshlrev_b32_e32 v8, 1, v2
	s_and_saveexec_b64 s[18:19], s[12:13]
	s_cbranch_execz .LBB4_28
; %bb.27:
	s_movk_i32 s25, 0x82
	v_mad_u32_u24 v2, v3, s25, v8
	v_and_or_b32 v2, v5, 1, v2
	v_lshlrev_b32_e32 v2, 2, v2
	ds_read_b32 v15, v2
.LBB4_28:
	s_or_b64 exec, exec, s[18:19]
	s_mov_b32 s25, 0xff800000
	s_waitcnt lgkmcnt(0)
	v_max3_f32 v2, v0, s25, v1
	v_max3_f32 v2, v2, v23, v20
	;; [unrolled: 1-line block ×4, first 2 shown]
	v_lshlrev_b32_e32 v11, 2, v5
	ds_bpermute_b32 v24, v11, v2 offset:128
	v_add_u32_e32 v26, 0x80, v11
	v_add_u32_e32 v25, 64, v11
	s_waitcnt lgkmcnt(0)
	v_max_f32_e32 v24, v24, v24
	v_max_f32_e32 v2, v2, v24
	ds_bpermute_b32 v24, v11, v2 offset:64
	s_waitcnt lgkmcnt(0)
	v_max_f32_e32 v24, v24, v24
	v_max_f32_e32 v2, v2, v24
	ds_bpermute_b32 v27, v11, v2 offset:32
	v_add_u32_e32 v24, 32, v11
	s_waitcnt lgkmcnt(0)
	v_max_f32_e32 v27, v27, v27
	v_max_f32_e32 v2, v2, v27
	v_cmp_neq_f32_e64 s[18:19], s25, v2
	v_mov_b32_e32 v27, 0
	s_and_saveexec_b64 s[28:29], s[18:19]
	s_cbranch_execz .LBB4_30
; %bb.29:
	v_pk_add_f32 v[28:29], v[0:1], v[2:3] op_sel_hi:[1,0] neg_lo:[0,1] neg_hi:[0,1]
	s_mov_b32 s38, 0x3fb8aa3b
	v_mul_f32_e32 v27, 0x3fb8aa3b, v29
	v_fma_f32 v30, v29, s38, -v27
	v_rndne_f32_e32 v27, v27
	v_fmac_f32_e32 v30, 0x32a5705f, v29
	v_mad_f32 v31, v29, s38, -v27
	v_add_f32_e32 v30, v31, v30
	v_exp_f32_e32 v30, v30
	v_cvt_i32_f32_e32 v27, v27
	s_mov_b32 s40, 0xc2ce8ed0
	v_cmp_ngt_f32_e64 s[18:19], s40, v29
	s_mov_b32 s44, 0x42b17218
	v_ldexp_f32 v27, v30, v27
	v_mul_f32_e32 v30, 0x3fb8aa3b, v28
	v_fma_f32 v31, v28, s38, -v30
	v_rndne_f32_e32 v30, v30
	v_fmac_f32_e32 v31, 0x32a5705f, v28
	v_mad_f32 v32, v28, s38, -v30
	v_add_f32_e32 v31, v32, v31
	v_exp_f32_e32 v31, v31
	v_cvt_i32_f32_e32 v30, v30
	v_cndmask_b32_e64 v27, 0, v27, s[18:19]
	v_cmp_nlt_f32_e64 s[18:19], s44, v29
	v_mov_b32_e32 v32, 0x7f800000
	v_ldexp_f32 v29, v31, v30
	v_sub_f32_e32 v30, v23, v2
	v_mul_f32_e32 v31, 0x3fb8aa3b, v30
	v_fma_f32 v33, v30, s38, -v31
	v_rndne_f32_e32 v31, v31
	v_fmac_f32_e32 v33, 0x32a5705f, v30
	v_mad_f32 v34, v30, s38, -v31
	v_add_f32_e32 v33, v34, v33
	v_exp_f32_e32 v33, v33
	v_cvt_i32_f32_e32 v31, v31
	v_cndmask_b32_e64 v27, v32, v27, s[18:19]
	v_cmp_ngt_f32_e64 s[18:19], s40, v28
	v_cndmask_b32_e64 v29, 0, v29, s[18:19]
	v_cmp_nlt_f32_e64 s[18:19], s44, v28
	v_cndmask_b32_e64 v28, v32, v29, s[18:19]
	v_ldexp_f32 v29, v33, v31
	v_sub_f32_e32 v31, v20, v2
	v_mul_f32_e32 v33, 0x3fb8aa3b, v31
	v_fma_f32 v34, v31, s38, -v33
	v_rndne_f32_e32 v33, v33
	v_fmac_f32_e32 v34, 0x32a5705f, v31
	v_mad_f32 v35, v31, s38, -v33
	v_add_f32_e32 v34, v35, v34
	v_exp_f32_e32 v34, v34
	v_cvt_i32_f32_e32 v33, v33
	v_cmp_ngt_f32_e64 s[18:19], s40, v30
	v_cndmask_b32_e64 v29, 0, v29, s[18:19]
	v_cmp_nlt_f32_e64 s[18:19], s44, v30
	v_ldexp_f32 v30, v34, v33
	v_sub_f32_e32 v33, v21, v2
	v_mul_f32_e32 v34, 0x3fb8aa3b, v33
	v_fma_f32 v35, v33, s38, -v34
	v_rndne_f32_e32 v34, v34
	v_fmac_f32_e32 v35, 0x32a5705f, v33
	v_mad_f32 v36, v33, s38, -v34
	v_add_f32_e32 v35, v36, v35
	v_exp_f32_e32 v35, v35
	v_cvt_i32_f32_e32 v34, v34
	v_cndmask_b32_e64 v29, v32, v29, s[18:19]
	v_cmp_ngt_f32_e64 s[18:19], s40, v31
	v_cndmask_b32_e64 v30, 0, v30, s[18:19]
	v_cmp_nlt_f32_e64 s[18:19], s44, v31
	v_ldexp_f32 v31, v35, v34
	v_sub_f32_e32 v34, v17, v2
	v_mul_f32_e32 v35, 0x3fb8aa3b, v34
	v_fma_f32 v36, v34, s38, -v35
	v_rndne_f32_e32 v35, v35
	v_fmac_f32_e32 v36, 0x32a5705f, v34
	v_mad_f32 v37, v34, s38, -v35
	v_add_f32_e32 v36, v37, v36
	v_exp_f32_e32 v36, v36
	v_cvt_i32_f32_e32 v35, v35
	v_cndmask_b32_e64 v30, v32, v30, s[18:19]
	;; [unrolled: 14-line block ×3, first 2 shown]
	v_cmp_ngt_f32_e64 s[18:19], s40, v34
	v_cndmask_b32_e64 v33, 0, v33, s[18:19]
	v_cmp_nlt_f32_e64 s[18:19], s44, v34
	v_ldexp_f32 v34, v37, v36
	v_sub_f32_e32 v36, v15, v2
	v_mul_f32_e32 v37, 0x3fb8aa3b, v36
	v_fma_f32 v38, v36, s38, -v37
	v_rndne_f32_e32 v37, v37
	v_fmac_f32_e32 v38, 0x32a5705f, v36
	v_mad_f32 v39, v36, s38, -v37
	v_add_f32_e32 v38, v39, v38
	v_exp_f32_e32 v38, v38
	v_cvt_i32_f32_e32 v37, v37
	v_add_f32_e32 v27, v28, v27
	v_cndmask_b32_e64 v33, v32, v33, s[18:19]
	v_cmp_ngt_f32_e64 s[18:19], s40, v35
	v_add_f32_e32 v27, v29, v27
	v_cndmask_b32_e64 v34, 0, v34, s[18:19]
	v_cmp_nlt_f32_e64 s[18:19], s44, v35
	v_add_f32_e32 v27, v30, v27
	v_cndmask_b32_e64 v34, v32, v34, s[18:19]
	v_ldexp_f32 v35, v38, v37
	v_cmp_ngt_f32_e64 s[18:19], s40, v36
	v_add_f32_e32 v27, v31, v27
	v_cndmask_b32_e64 v35, 0, v35, s[18:19]
	v_cmp_nlt_f32_e64 s[18:19], s44, v36
	v_add_f32_e32 v27, v33, v27
	v_cndmask_b32_e64 v32, v32, v35, s[18:19]
	v_add_f32_e32 v27, v34, v27
	v_add_f32_e32 v27, v32, v27
.LBB4_30:
	s_or_b64 exec, exec, s[28:29]
	ds_bpermute_b32 v26, v26, v27
	s_mov_b32 s18, 0x3f317217
	s_mov_b32 s19, 0x7f800000
	s_mov_b64 s[44:45], 0
	s_waitcnt lgkmcnt(0)
	v_add_f32_e32 v26, v27, v26
	ds_bpermute_b32 v25, v25, v26
	s_barrier
	s_waitcnt lgkmcnt(0)
	v_add_f32_e32 v25, v26, v25
	ds_bpermute_b32 v24, v24, v25
	v_mov_b32_e32 v26, 0xff800000
	s_waitcnt lgkmcnt(0)
	v_add_f32_e32 v24, v25, v24
	v_log_f32_e32 v25, v24
	v_mul_f32_e32 v27, 0x3f317217, v25
	v_fma_f32 v27, v25, s18, -v27
	v_fmac_f32_e32 v27, 0x3377d1cf, v25
	v_mac_f32_e32 v27, 0x3f317217, v25
	v_cmp_lt_f32_e64 s[18:19], |v25|, s19
	v_cndmask_b32_e64 v25, v25, v27, s[18:19]
	v_add_f32_e32 v2, v2, v25
	v_cmp_neq_f32_e64 s[18:19], 0, v24
	v_cndmask_b32_e64 v2, v26, v2, s[18:19]
	v_cmp_neq_f32_e64 s[18:19], s25, v2
                                        ; implicit-def: $vgpr24
	s_and_saveexec_b64 s[28:29], s[18:19]
	s_xor_b64 s[28:29], exec, s[28:29]
	s_cbranch_execnz .LBB4_47
; %bb.31:
	s_andn2_saveexec_b64 s[18:19], s[28:29]
	s_cbranch_execnz .LBB4_58
.LBB4_32:
	s_or_b64 exec, exec, s[18:19]
	s_and_saveexec_b64 s[0:1], s[44:45]
	s_cbranch_execz .LBB4_34
.LBB4_33:
	s_movk_i32 s2, 0x82
	v_mad_u32_u24 v0, v3, s2, v8
	v_and_or_b32 v0, v5, 1, v0
	v_lshlrev_b32_e32 v0, 2, v0
	ds_write_b32 v0, v24
.LBB4_34:
	s_or_b64 exec, exec, s[0:1]
	s_mul_hi_i32 s3, s36, s7
	s_mul_i32 s2, s36, s7
	s_lshl_b64 s[2:3], s[2:3], 2
	s_mul_hi_i32 s1, s37, s8
	s_mul_i32 s0, s37, s8
	s_add_u32 s2, s42, s2
	s_addc_u32 s3, s43, s3
	s_lshl_b64 s[0:1], s[0:1], 2
	s_add_u32 s0, s2, s0
	v_and_b32_e32 v8, 7, v5
	s_addc_u32 s1, s3, s1
	s_lshl_b32 s2, s20, 2
	s_mov_b32 s3, 0x20000
	v_add_lshl_u32 v0, v8, s33, 2
	s_add_i32 s10, s20, -1
	buffer_store_dword v2, v0, s[0:3], 0 offen
	v_readfirstlane_b32 s2, v10
	v_lshrrev_b32_e32 v12, 3, v5
	; sched_barrier mask(0x00000000)
	s_mov_b32 s11, 0
	s_cmp_lt_i32 s53, 4
	v_mov_b32_e32 v3, 0
	v_mov_b32_e32 v2, 0
	;; [unrolled: 1-line block ×4, first 2 shown]
	s_waitcnt lgkmcnt(0)
	s_barrier
	s_cbranch_scc1 .LBB4_46
; %bb.35:
	s_mul_i32 s1, s23, s10
	s_mul_i32 s52, s52, s54
	;; [unrolled: 1-line block ×3, first 2 shown]
	s_add_i32 s1, s1, s21
	s_mul_hi_i32 s5, s26, s7
	s_mul_i32 s4, s26, s7
	s_lshl_b32 s12, s52, 5
	s_add_i32 s13, s1, s0
	s_lshl_b64 s[4:5], s[4:5], 2
	s_mul_hi_i32 s1, s39, s8
	s_mul_i32 s0, s39, s8
	s_add_u32 s4, s30, s4
	s_addc_u32 s5, s31, s5
	s_lshl_b64 s[0:1], s[0:1], 2
	s_add_u32 s0, s4, s0
	s_addc_u32 s1, s5, s1
	s_lshl_b32 s2, s2, 3
	s_add_i32 s2, s2, s12
	v_add_u32_e32 v13, 1, v6
	v_add_u32_e32 v15, s2, v12
	v_mul_hi_u32 v0, v13, v15
	v_add_u32_e32 v0, v15, v0
	v_add_u32_e32 v14, 1, v4
	v_lshrrev_b32_e32 v0, s51, v0
	v_mul_hi_u32 v1, v14, v0
	v_add_u32_e32 v1, v0, v1
	v_lshrrev_b32_e32 v19, s50, v1
	v_mul_lo_u32 v1, v19, s49
	v_sub_u32_e32 v20, v0, v1
	v_mul_lo_u32 v0, v0, s48
	v_sub_u32_e32 v6, v15, v0
	v_mad_u64_u32 v[0:1], s[4:5], v19, s48, v[6:7]
	v_lshl_add_u32 v2, v8, 2, s6
	v_mul_lo_u32 v3, v20, s41
	v_mul_lo_u32 v0, v0, s23
	v_add3_u32 v16, v2, v3, v0
	v_lshrrev_b32_e32 v0, 4, v5
	s_lshl_b32 s2, s13, 2
	v_bfe_u32 v17, v5, 3, 1
	v_mul_u32_u24_e32 v18, 0x82, v0
	v_add_u32_e32 v4, 32, v15
	s_sub_i32 s12, 0, s48
	v_mov_b32_e32 v0, 0
	v_mov_b32_e32 v21, v20
	;; [unrolled: 1-line block ×5, first 2 shown]
.LBB4_36:                               ; =>This Inner Loop Header: Depth=1
	v_cmp_gt_i32_e32 vcc, s22, v21
	v_lshlrev_b32_e32 v22, 2, v16
	v_mov_b32_e32 v8, 0
	s_and_saveexec_b64 s[4:5], vcc
	s_cbranch_execz .LBB4_38
; %bb.37:                               ;   in Loop: Header=BB4_36 Depth=1
	buffer_load_dword v8, v22, s[0:3], 0 offen
.LBB4_38:                               ;   in Loop: Header=BB4_36 Depth=1
	s_or_b64 exec, exec, s[4:5]
	v_mov_b32_e32 v9, 0
	s_and_saveexec_b64 s[4:5], vcc
	s_cbranch_execz .LBB4_40
; %bb.39:                               ;   in Loop: Header=BB4_36 Depth=1
	buffer_load_dword v9, v22, s[0:3], 0 offen offset:4
.LBB4_40:                               ;   in Loop: Header=BB4_36 Depth=1
	s_or_b64 exec, exec, s[4:5]
	v_mov_b32_e32 v23, 0
	v_mov_b32_e32 v24, 0
	s_and_saveexec_b64 s[4:5], vcc
	s_cbranch_execz .LBB4_42
; %bb.41:                               ;   in Loop: Header=BB4_36 Depth=1
	buffer_load_dword v24, v22, s[0:3], 0 offen offset:8
.LBB4_42:                               ;   in Loop: Header=BB4_36 Depth=1
	s_or_b64 exec, exec, s[4:5]
	s_and_saveexec_b64 s[4:5], vcc
	s_cbranch_execz .LBB4_44
; %bb.43:                               ;   in Loop: Header=BB4_36 Depth=1
	buffer_load_dword v23, v22, s[0:3], 0 offen offset:12
.LBB4_44:                               ;   in Loop: Header=BB4_36 Depth=1
	s_or_b64 exec, exec, s[4:5]
	v_readfirstlane_b32 s4, v10
	s_add_i32 s4, s4, s11
	v_lshl_add_u32 v22, s4, 1, v18
	v_or_b32_e32 v22, v22, v17
	v_lshlrev_b32_e32 v22, 2, v22
	ds_read_b32 v22, v22
	v_add_u32_e32 v15, 32, v15
	s_add_i32 s11, s11, 4
	s_cmp_lt_i32 s11, s49
	s_waitcnt vmcnt(0) lgkmcnt(0)
	v_fmac_f32_e32 v0, v8, v22
	v_mul_hi_u32 v8, v13, v4
	v_add_u32_e32 v8, v15, v8
	v_fmac_f32_e32 v3, v23, v22
	v_lshrrev_b32_e32 v23, s51, v8
	v_fmac_f32_e32 v1, v9, v22
	v_mad_u64_u32 v[8:9], s[4:5], s12, v23, v[4:5]
	v_mul_hi_u32 v9, v14, v23
	v_add_u32_e32 v9, v23, v9
	v_lshrrev_b32_e32 v9, s50, v9
	v_sub_u32_e32 v19, v9, v19
	v_sub_u32_e32 v19, v19, v23
	v_fmac_f32_e32 v2, v24, v22
	v_mul_lo_u32 v22, v9, s49
	v_mul_lo_u32 v19, s48, v19
	v_sub_u32_e32 v22, v23, v22
	v_sub_u32_e32 v6, v19, v6
	;; [unrolled: 1-line block ×3, first 2 shown]
	v_add_u32_e32 v6, v4, v6
	v_mul_lo_u32 v19, v20, s41
	v_mul_lo_u32 v6, v6, s23
	v_add_u32_e32 v21, v20, v21
	v_add3_u32 v16, v19, v16, v6
	v_add_u32_e32 v4, 32, v4
	s_cbranch_scc0 .LBB4_46
; %bb.45:                               ;   in Loop: Header=BB4_36 Depth=1
	v_mov_b32_e32 v6, v8
	v_mov_b32_e32 v19, v9
	;; [unrolled: 1-line block ×3, first 2 shown]
	s_branch .LBB4_36
.LBB4_46:
	v_readfirstlane_b32 s2, v10
	v_and_b32_e32 v4, 28, v11
	v_lshlrev_b32_e32 v6, 2, v4
	v_lshlrev_b32_e32 v8, 4, v12
	v_add_lshl_u32 v4, s2, v4, 7
	v_add3_u32 v4, v6, v8, v4
	ds_write_b128 v4, v[0:3] offset:2072
	; sched_barrier mask(0x00000000)
	v_and_or_b32 v0, v12, 12, v7
	v_bfe_u32 v1, v5, 2, 3
	v_lshlrev_b32_e32 v0, 2, v0
	v_mul_u32_u24_e32 v1, 0x210, v1
	s_lshl_b32 s0, s2, 5
	v_add3_u32 v0, v0, v1, s0
	v_add_u32_e32 v2, 0x800, v0
	s_waitcnt lgkmcnt(0)
	s_barrier
	ds_read2_b32 v[0:1], v2 offset0:70 offset1:102
	ds_read2_b32 v[2:3], v2 offset0:6 offset1:38
	s_mul_i32 s0, s24, s10
	s_add_i32 s3, s0, s21
	s_mul_hi_i32 s1, s27, s7
	s_mul_i32 s0, s27, s7
	s_lshl_b64 s[0:1], s[0:1], 1
	s_add_u32 s4, s34, s0
	s_addc_u32 s5, s35, s1
	s_mul_hi_i32 s1, s9, s8
	s_mul_i32 s0, s9, s8
	s_waitcnt lgkmcnt(0)
	v_add_f32_e32 v2, 0, v2
	s_lshl_b64 s[0:1], s[0:1], 1
	v_add_f32_e32 v2, v3, v2
	s_add_u32 s0, s4, s0
	v_add_f32_e32 v0, v0, v2
	s_addc_u32 s1, s5, s1
	v_add_f32_e32 v0, v1, v0
	s_lshl_b32 s2, s2, 1
	v_cvt_f16_f32_e32 v0, v0
	v_lshrrev_b32_e32 v1, 5, v5
	s_add_i32 s2, s2, s33
	v_and_b32_e32 v2, 31, v5
	v_add_u32_e32 v1, s2, v1
	v_add_u32_e32 v2, s6, v2
	v_mul_lo_u32 v1, v1, s24
	s_lshl_b32 s2, s3, 1
	s_mov_b32 s3, 0x20000
	v_add_lshl_u32 v1, v2, v1, 1
	buffer_store_short v0, v1, s[0:3], 0 offen
	s_endpgm
.LBB4_47:
	s_and_saveexec_b64 s[44:45], vcc
	s_cbranch_execnz .LBB4_69
; %bb.48:
	s_or_b64 exec, exec, s[44:45]
	s_and_saveexec_b64 s[44:45], s[0:1]
	s_cbranch_execnz .LBB4_70
.LBB4_49:
	s_or_b64 exec, exec, s[44:45]
	s_and_saveexec_b64 s[44:45], s[2:3]
	s_cbranch_execnz .LBB4_71
.LBB4_50:
	s_or_b64 exec, exec, s[44:45]
	s_and_saveexec_b64 s[44:45], s[4:5]
	s_cbranch_execnz .LBB4_72
.LBB4_51:
	s_or_b64 exec, exec, s[44:45]
	s_and_saveexec_b64 s[44:45], s[16:17]
	s_cbranch_execnz .LBB4_73
.LBB4_52:
	s_or_b64 exec, exec, s[44:45]
	s_and_saveexec_b64 s[44:45], s[14:15]
	s_cbranch_execnz .LBB4_74
.LBB4_53:
	s_or_b64 exec, exec, s[44:45]
	s_and_saveexec_b64 s[44:45], s[10:11]
	s_cbranch_execz .LBB4_55
.LBB4_54:
	v_sub_f32_e32 v0, v19, v2
	s_mov_b32 s18, 0x3fb8aa3b
	v_mul_f32_e32 v1, 0x3fb8aa3b, v0
	v_fma_f32 v12, v0, s18, -v1
	v_rndne_f32_e32 v1, v1
	v_fmac_f32_e32 v12, 0x32a5705f, v0
	v_mad_f32 v13, v0, s18, -v1
	v_add_f32_e32 v12, v13, v12
	v_exp_f32_e32 v12, v12
	v_cvt_i32_f32_e32 v1, v1
	s_mov_b32 s18, 0xc2ce8ed0
	v_cmp_ngt_f32_e64 s[18:19], s18, v0
	v_ldexp_f32 v1, v12, v1
	v_cndmask_b32_e64 v1, 0, v1, s[18:19]
	s_mov_b32 s18, 0x42b17218
	v_mov_b32_e32 v12, 0x7f800000
	v_cmp_nlt_f32_e64 s[18:19], s18, v0
	v_cndmask_b32_e64 v0, v12, v1, s[18:19]
	v_mul_u32_u24_e32 v1, 0x82, v3
	v_lshl_add_u32 v1, v9, 1, v1
	v_and_or_b32 v1, v5, 1, v1
	v_lshlrev_b32_e32 v1, 2, v1
	ds_write_b32 v1, v0
.LBB4_55:
	s_or_b64 exec, exec, s[44:45]
	s_mov_b64 s[44:45], 0
                                        ; implicit-def: $vgpr24
	s_and_saveexec_b64 s[18:19], s[12:13]
	s_xor_b64 s[46:47], exec, s[18:19]
	s_cbranch_execz .LBB4_57
; %bb.56:
	v_sub_f32_e32 v0, v15, v2
	s_mov_b32 s18, 0x3fb8aa3b
	v_mul_f32_e32 v1, 0x3fb8aa3b, v0
	v_fma_f32 v9, v0, s18, -v1
	v_rndne_f32_e32 v1, v1
	v_fmac_f32_e32 v9, 0x32a5705f, v0
	v_mad_f32 v12, v0, s18, -v1
	v_add_f32_e32 v9, v12, v9
	v_exp_f32_e32 v9, v9
	v_cvt_i32_f32_e32 v1, v1
	s_mov_b32 s18, 0xc2ce8ed0
	v_cmp_ngt_f32_e64 s[18:19], s18, v0
	s_mov_b64 s[44:45], exec
	v_ldexp_f32 v1, v9, v1
	v_cndmask_b32_e64 v1, 0, v1, s[18:19]
	s_mov_b32 s18, 0x42b17218
	v_mov_b32_e32 v9, 0x7f800000
	v_cmp_nlt_f32_e64 s[18:19], s18, v0
	v_cndmask_b32_e64 v24, v9, v1, s[18:19]
.LBB4_57:
	s_or_b64 exec, exec, s[46:47]
	s_and_b64 s[44:45], s[44:45], exec
                                        ; implicit-def: $vgpr9
                                        ; implicit-def: $vgpr12
                                        ; implicit-def: $vgpr13
                                        ; implicit-def: $vgpr14
                                        ; implicit-def: $vgpr16
                                        ; implicit-def: $vgpr18
                                        ; implicit-def: $vgpr22
	s_andn2_saveexec_b64 s[18:19], s[28:29]
	s_cbranch_execz .LBB4_32
.LBB4_58:
	s_and_saveexec_b64 s[28:29], vcc
	s_cbranch_execnz .LBB4_75
; %bb.59:
	s_or_b64 exec, exec, s[28:29]
	s_and_saveexec_b64 s[28:29], s[0:1]
	s_cbranch_execnz .LBB4_76
.LBB4_60:
	s_or_b64 exec, exec, s[28:29]
	s_and_saveexec_b64 s[0:1], s[2:3]
	s_cbranch_execnz .LBB4_77
.LBB4_61:
	s_or_b64 exec, exec, s[0:1]
	s_and_saveexec_b64 s[0:1], s[4:5]
	s_cbranch_execnz .LBB4_78
.LBB4_62:
	s_or_b64 exec, exec, s[0:1]
	s_and_saveexec_b64 s[0:1], s[16:17]
	s_cbranch_execnz .LBB4_79
.LBB4_63:
	s_or_b64 exec, exec, s[0:1]
	s_and_saveexec_b64 s[0:1], s[14:15]
	s_cbranch_execnz .LBB4_80
.LBB4_64:
	s_or_b64 exec, exec, s[0:1]
	s_and_saveexec_b64 s[0:1], s[10:11]
	s_cbranch_execz .LBB4_66
.LBB4_65:
	v_mul_u32_u24_e32 v0, 0x82, v3
	v_lshl_add_u32 v0, v9, 1, v0
	v_and_or_b32 v0, v5, 1, v0
	v_lshlrev_b32_e32 v0, 2, v0
	v_mov_b32_e32 v1, 0
	ds_write_b32 v0, v1
.LBB4_66:
	s_or_b64 exec, exec, s[0:1]
	s_andn2_b64 s[0:1], s[44:45], exec
	s_and_b64 s[2:3], s[12:13], exec
	v_mov_b32_e32 v24, 0
	s_or_b64 s[44:45], s[0:1], s[2:3]
	s_or_b64 exec, exec, s[18:19]
	s_and_saveexec_b64 s[0:1], s[44:45]
	s_cbranch_execnz .LBB4_33
	s_branch .LBB4_34
.LBB4_67:
                                        ; implicit-def: $vgpr4_vgpr5
	s_branch .LBB4_6
.LBB4_68:
                                        ; implicit-def: $vgpr6_vgpr7
	s_branch .LBB4_9
.LBB4_69:
	v_sub_f32_e32 v0, v0, v2
	s_mov_b32 s18, 0x3fb8aa3b
	v_mul_f32_e32 v24, 0x3fb8aa3b, v0
	v_fma_f32 v25, v0, s18, -v24
	v_rndne_f32_e32 v24, v24
	v_fmac_f32_e32 v25, 0x32a5705f, v0
	v_mad_f32 v26, v0, s18, -v24
	v_add_f32_e32 v25, v26, v25
	v_exp_f32_e32 v25, v25
	v_cvt_i32_f32_e32 v24, v24
	s_mov_b32 s18, 0xc2ce8ed0
	v_cmp_ngt_f32_e64 s[18:19], s18, v0
	v_lshlrev_b32_e32 v22, 1, v22
	v_ldexp_f32 v24, v25, v24
	v_cndmask_b32_e64 v24, 0, v24, s[18:19]
	s_mov_b32 s18, 0x42b17218
	v_mov_b32_e32 v25, 0x7f800000
	v_cmp_nlt_f32_e64 s[18:19], s18, v0
	v_cndmask_b32_e64 v0, v25, v24, s[18:19]
	s_movk_i32 s18, 0x82
	v_mad_u32_u24 v22, v3, s18, v22
	v_and_or_b32 v22, v5, 1, v22
	v_lshlrev_b32_e32 v22, 2, v22
	ds_write_b32 v22, v0
	s_or_b64 exec, exec, s[44:45]
	s_and_saveexec_b64 s[44:45], s[0:1]
	s_cbranch_execz .LBB4_49
.LBB4_70:
	v_sub_f32_e32 v0, v1, v2
	s_mov_b32 s18, 0x3fb8aa3b
	v_mul_f32_e32 v1, 0x3fb8aa3b, v0
	v_fma_f32 v22, v0, s18, -v1
	v_rndne_f32_e32 v1, v1
	v_fmac_f32_e32 v22, 0x32a5705f, v0
	v_mad_f32 v24, v0, s18, -v1
	v_add_f32_e32 v22, v24, v22
	v_exp_f32_e32 v22, v22
	v_cvt_i32_f32_e32 v1, v1
	s_mov_b32 s18, 0xc2ce8ed0
	v_cmp_ngt_f32_e64 s[18:19], s18, v0
	v_ldexp_f32 v1, v22, v1
	v_cndmask_b32_e64 v1, 0, v1, s[18:19]
	s_mov_b32 s18, 0x42b17218
	v_mov_b32_e32 v22, 0x7f800000
	v_cmp_nlt_f32_e64 s[18:19], s18, v0
	v_cndmask_b32_e64 v0, v22, v1, s[18:19]
	v_mul_u32_u24_e32 v1, 0x82, v3
	v_lshl_add_u32 v1, v18, 1, v1
	v_and_or_b32 v1, v5, 1, v1
	v_lshlrev_b32_e32 v1, 2, v1
	ds_write_b32 v1, v0
	s_or_b64 exec, exec, s[44:45]
	s_and_saveexec_b64 s[44:45], s[2:3]
	s_cbranch_execz .LBB4_50
.LBB4_71:
	v_sub_f32_e32 v0, v23, v2
	s_mov_b32 s18, 0x3fb8aa3b
	v_mul_f32_e32 v1, 0x3fb8aa3b, v0
	v_fma_f32 v18, v0, s18, -v1
	v_rndne_f32_e32 v1, v1
	v_fmac_f32_e32 v18, 0x32a5705f, v0
	v_mad_f32 v22, v0, s18, -v1
	v_add_f32_e32 v18, v22, v18
	v_exp_f32_e32 v18, v18
	v_cvt_i32_f32_e32 v1, v1
	s_mov_b32 s18, 0xc2ce8ed0
	v_cmp_ngt_f32_e64 s[18:19], s18, v0
	v_ldexp_f32 v1, v18, v1
	v_cndmask_b32_e64 v1, 0, v1, s[18:19]
	s_mov_b32 s18, 0x42b17218
	v_mov_b32_e32 v18, 0x7f800000
	v_cmp_nlt_f32_e64 s[18:19], s18, v0
	v_cndmask_b32_e64 v0, v18, v1, s[18:19]
	v_mul_u32_u24_e32 v1, 0x82, v3
	v_lshl_add_u32 v1, v16, 1, v1
	v_and_or_b32 v1, v5, 1, v1
	v_lshlrev_b32_e32 v1, 2, v1
	ds_write_b32 v1, v0
	s_or_b64 exec, exec, s[44:45]
	s_and_saveexec_b64 s[44:45], s[4:5]
	s_cbranch_execz .LBB4_51
.LBB4_72:
	v_sub_f32_e32 v0, v20, v2
	s_mov_b32 s18, 0x3fb8aa3b
	v_mul_f32_e32 v1, 0x3fb8aa3b, v0
	v_fma_f32 v16, v0, s18, -v1
	v_rndne_f32_e32 v1, v1
	v_fmac_f32_e32 v16, 0x32a5705f, v0
	v_mad_f32 v18, v0, s18, -v1
	v_add_f32_e32 v16, v18, v16
	v_exp_f32_e32 v16, v16
	v_cvt_i32_f32_e32 v1, v1
	s_mov_b32 s18, 0xc2ce8ed0
	v_cmp_ngt_f32_e64 s[18:19], s18, v0
	v_ldexp_f32 v1, v16, v1
	v_cndmask_b32_e64 v1, 0, v1, s[18:19]
	s_mov_b32 s18, 0x42b17218
	v_mov_b32_e32 v16, 0x7f800000
	v_cmp_nlt_f32_e64 s[18:19], s18, v0
	v_cndmask_b32_e64 v0, v16, v1, s[18:19]
	v_mul_u32_u24_e32 v1, 0x82, v3
	v_lshl_add_u32 v1, v14, 1, v1
	v_and_or_b32 v1, v5, 1, v1
	v_lshlrev_b32_e32 v1, 2, v1
	ds_write_b32 v1, v0
	s_or_b64 exec, exec, s[44:45]
	s_and_saveexec_b64 s[44:45], s[16:17]
	s_cbranch_execz .LBB4_52
.LBB4_73:
	v_sub_f32_e32 v0, v21, v2
	s_mov_b32 s18, 0x3fb8aa3b
	v_mul_f32_e32 v1, 0x3fb8aa3b, v0
	v_fma_f32 v14, v0, s18, -v1
	v_rndne_f32_e32 v1, v1
	v_fmac_f32_e32 v14, 0x32a5705f, v0
	v_mad_f32 v16, v0, s18, -v1
	v_add_f32_e32 v14, v16, v14
	v_exp_f32_e32 v14, v14
	v_cvt_i32_f32_e32 v1, v1
	s_mov_b32 s18, 0xc2ce8ed0
	v_cmp_ngt_f32_e64 s[18:19], s18, v0
	v_ldexp_f32 v1, v14, v1
	v_cndmask_b32_e64 v1, 0, v1, s[18:19]
	s_mov_b32 s18, 0x42b17218
	v_mov_b32_e32 v14, 0x7f800000
	v_cmp_nlt_f32_e64 s[18:19], s18, v0
	v_cndmask_b32_e64 v0, v14, v1, s[18:19]
	v_mul_u32_u24_e32 v1, 0x82, v3
	v_lshl_add_u32 v1, v13, 1, v1
	v_and_or_b32 v1, v5, 1, v1
	v_lshlrev_b32_e32 v1, 2, v1
	ds_write_b32 v1, v0
	s_or_b64 exec, exec, s[44:45]
	s_and_saveexec_b64 s[44:45], s[14:15]
	s_cbranch_execz .LBB4_53
.LBB4_74:
	v_sub_f32_e32 v0, v17, v2
	s_mov_b32 s18, 0x3fb8aa3b
	v_mul_f32_e32 v1, 0x3fb8aa3b, v0
	v_fma_f32 v13, v0, s18, -v1
	v_rndne_f32_e32 v1, v1
	v_fmac_f32_e32 v13, 0x32a5705f, v0
	v_mad_f32 v14, v0, s18, -v1
	v_add_f32_e32 v13, v14, v13
	v_exp_f32_e32 v13, v13
	v_cvt_i32_f32_e32 v1, v1
	s_mov_b32 s18, 0xc2ce8ed0
	v_cmp_ngt_f32_e64 s[18:19], s18, v0
	v_ldexp_f32 v1, v13, v1
	v_cndmask_b32_e64 v1, 0, v1, s[18:19]
	s_mov_b32 s18, 0x42b17218
	v_mov_b32_e32 v13, 0x7f800000
	v_cmp_nlt_f32_e64 s[18:19], s18, v0
	v_cndmask_b32_e64 v0, v13, v1, s[18:19]
	v_mul_u32_u24_e32 v1, 0x82, v3
	v_lshl_add_u32 v1, v12, 1, v1
	v_and_or_b32 v1, v5, 1, v1
	v_lshlrev_b32_e32 v1, 2, v1
	ds_write_b32 v1, v0
	s_or_b64 exec, exec, s[44:45]
	s_and_saveexec_b64 s[44:45], s[10:11]
	s_cbranch_execnz .LBB4_54
	s_branch .LBB4_55
.LBB4_75:
	v_lshlrev_b32_e32 v0, 1, v22
	s_movk_i32 s25, 0x82
	v_mad_u32_u24 v0, v3, s25, v0
	v_and_or_b32 v0, v5, 1, v0
	v_lshlrev_b32_e32 v0, 2, v0
	v_mov_b32_e32 v1, 0
	ds_write_b32 v0, v1
	s_or_b64 exec, exec, s[28:29]
	s_and_saveexec_b64 s[28:29], s[0:1]
	s_cbranch_execz .LBB4_60
.LBB4_76:
	v_mul_u32_u24_e32 v0, 0x82, v3
	v_lshl_add_u32 v0, v18, 1, v0
	v_and_or_b32 v0, v5, 1, v0
	v_lshlrev_b32_e32 v0, 2, v0
	v_mov_b32_e32 v1, 0
	ds_write_b32 v0, v1
	s_or_b64 exec, exec, s[28:29]
	s_and_saveexec_b64 s[0:1], s[2:3]
	s_cbranch_execz .LBB4_61
.LBB4_77:
	v_mul_u32_u24_e32 v0, 0x82, v3
	v_lshl_add_u32 v0, v16, 1, v0
	v_and_or_b32 v0, v5, 1, v0
	v_lshlrev_b32_e32 v0, 2, v0
	v_mov_b32_e32 v1, 0
	ds_write_b32 v0, v1
	s_or_b64 exec, exec, s[0:1]
	s_and_saveexec_b64 s[0:1], s[4:5]
	s_cbranch_execz .LBB4_62
.LBB4_78:
	v_mul_u32_u24_e32 v0, 0x82, v3
	v_lshl_add_u32 v0, v14, 1, v0
	v_and_or_b32 v0, v5, 1, v0
	v_lshlrev_b32_e32 v0, 2, v0
	v_mov_b32_e32 v1, 0
	ds_write_b32 v0, v1
	s_or_b64 exec, exec, s[0:1]
	s_and_saveexec_b64 s[0:1], s[16:17]
	s_cbranch_execz .LBB4_63
.LBB4_79:
	v_mul_u32_u24_e32 v0, 0x82, v3
	v_lshl_add_u32 v0, v13, 1, v0
	v_and_or_b32 v0, v5, 1, v0
	v_lshlrev_b32_e32 v0, 2, v0
	v_mov_b32_e32 v1, 0
	ds_write_b32 v0, v1
	s_or_b64 exec, exec, s[0:1]
	s_and_saveexec_b64 s[0:1], s[14:15]
	s_cbranch_execz .LBB4_64
.LBB4_80:
	v_mul_u32_u24_e32 v0, 0x82, v3
	v_lshl_add_u32 v0, v12, 1, v0
	v_and_or_b32 v0, v5, 1, v0
	v_lshlrev_b32_e32 v0, 2, v0
	v_mov_b32_e32 v1, 0
	ds_write_b32 v0, v1
	s_or_b64 exec, exec, s[0:1]
	s_and_saveexec_b64 s[0:1], s[10:11]
	s_cbranch_execnz .LBB4_65
	s_branch .LBB4_66
	.section	.rodata,"a",@progbits
	.p2align	6, 0x0
	.amdhsa_kernel _ZN7ck_tile6kentryINS_6gfx9_tELi2ENS_27FmhaFwdSplitKVCombineKernelINS_34BlockFmhaFwdSplitKVCombinePipelineINS_38BlockFmhaSplitKVCombinePipelineProblemIffDF16_Li128ELb0ELi32ENS_31TileFmhaFwdSplitKVCombineTraitsILb0ELb0ELb1ELb0ELi6ELin1EEEEENS_47BlockFmhaFwdSplitKVCombinePipelineDefaultPolicyEEENS_17Default2DEpilogueINS_24Default2DEpilogueProblemIfDF16_Lb0ELb0ELb1EEEvEEEEJNSE_14BatchModeKargsEEEENSt9enable_ifIXnt26kattr_no_packed_fp32_ops_vIT_EEvE4typeEDpT2_
		.amdhsa_group_segment_fixed_size 6280
		.amdhsa_private_segment_fixed_size 0
		.amdhsa_kernarg_size 104
		.amdhsa_user_sgpr_count 6
		.amdhsa_user_sgpr_private_segment_buffer 1
		.amdhsa_user_sgpr_dispatch_ptr 0
		.amdhsa_user_sgpr_queue_ptr 0
		.amdhsa_user_sgpr_kernarg_segment_ptr 1
		.amdhsa_user_sgpr_dispatch_id 0
		.amdhsa_user_sgpr_flat_scratch_init 0
		.amdhsa_user_sgpr_kernarg_preload_length 0
		.amdhsa_user_sgpr_kernarg_preload_offset 0
		.amdhsa_user_sgpr_private_segment_size 0
		.amdhsa_uses_dynamic_stack 0
		.amdhsa_system_sgpr_private_segment_wavefront_offset 0
		.amdhsa_system_sgpr_workgroup_id_x 1
		.amdhsa_system_sgpr_workgroup_id_y 1
		.amdhsa_system_sgpr_workgroup_id_z 1
		.amdhsa_system_sgpr_workgroup_info 0
		.amdhsa_system_vgpr_workitem_id 0
		.amdhsa_next_free_vgpr 40
		.amdhsa_next_free_sgpr 56
		.amdhsa_accum_offset 40
		.amdhsa_reserve_vcc 1
		.amdhsa_reserve_flat_scratch 0
		.amdhsa_float_round_mode_32 0
		.amdhsa_float_round_mode_16_64 0
		.amdhsa_float_denorm_mode_32 0
		.amdhsa_float_denorm_mode_16_64 3
		.amdhsa_dx10_clamp 1
		.amdhsa_ieee_mode 1
		.amdhsa_fp16_overflow 0
		.amdhsa_tg_split 0
		.amdhsa_exception_fp_ieee_invalid_op 0
		.amdhsa_exception_fp_denorm_src 0
		.amdhsa_exception_fp_ieee_div_zero 0
		.amdhsa_exception_fp_ieee_overflow 0
		.amdhsa_exception_fp_ieee_underflow 0
		.amdhsa_exception_fp_ieee_inexact 0
		.amdhsa_exception_int_div_zero 0
	.end_amdhsa_kernel
	.section	.text._ZN7ck_tile6kentryINS_6gfx9_tELi2ENS_27FmhaFwdSplitKVCombineKernelINS_34BlockFmhaFwdSplitKVCombinePipelineINS_38BlockFmhaSplitKVCombinePipelineProblemIffDF16_Li128ELb0ELi32ENS_31TileFmhaFwdSplitKVCombineTraitsILb0ELb0ELb1ELb0ELi6ELin1EEEEENS_47BlockFmhaFwdSplitKVCombinePipelineDefaultPolicyEEENS_17Default2DEpilogueINS_24Default2DEpilogueProblemIfDF16_Lb0ELb0ELb1EEEvEEEEJNSE_14BatchModeKargsEEEENSt9enable_ifIXnt26kattr_no_packed_fp32_ops_vIT_EEvE4typeEDpT2_,"axG",@progbits,_ZN7ck_tile6kentryINS_6gfx9_tELi2ENS_27FmhaFwdSplitKVCombineKernelINS_34BlockFmhaFwdSplitKVCombinePipelineINS_38BlockFmhaSplitKVCombinePipelineProblemIffDF16_Li128ELb0ELi32ENS_31TileFmhaFwdSplitKVCombineTraitsILb0ELb0ELb1ELb0ELi6ELin1EEEEENS_47BlockFmhaFwdSplitKVCombinePipelineDefaultPolicyEEENS_17Default2DEpilogueINS_24Default2DEpilogueProblemIfDF16_Lb0ELb0ELb1EEEvEEEEJNSE_14BatchModeKargsEEEENSt9enable_ifIXnt26kattr_no_packed_fp32_ops_vIT_EEvE4typeEDpT2_,comdat
.Lfunc_end4:
	.size	_ZN7ck_tile6kentryINS_6gfx9_tELi2ENS_27FmhaFwdSplitKVCombineKernelINS_34BlockFmhaFwdSplitKVCombinePipelineINS_38BlockFmhaSplitKVCombinePipelineProblemIffDF16_Li128ELb0ELi32ENS_31TileFmhaFwdSplitKVCombineTraitsILb0ELb0ELb1ELb0ELi6ELin1EEEEENS_47BlockFmhaFwdSplitKVCombinePipelineDefaultPolicyEEENS_17Default2DEpilogueINS_24Default2DEpilogueProblemIfDF16_Lb0ELb0ELb1EEEvEEEEJNSE_14BatchModeKargsEEEENSt9enable_ifIXnt26kattr_no_packed_fp32_ops_vIT_EEvE4typeEDpT2_, .Lfunc_end4-_ZN7ck_tile6kentryINS_6gfx9_tELi2ENS_27FmhaFwdSplitKVCombineKernelINS_34BlockFmhaFwdSplitKVCombinePipelineINS_38BlockFmhaSplitKVCombinePipelineProblemIffDF16_Li128ELb0ELi32ENS_31TileFmhaFwdSplitKVCombineTraitsILb0ELb0ELb1ELb0ELi6ELin1EEEEENS_47BlockFmhaFwdSplitKVCombinePipelineDefaultPolicyEEENS_17Default2DEpilogueINS_24Default2DEpilogueProblemIfDF16_Lb0ELb0ELb1EEEvEEEEJNSE_14BatchModeKargsEEEENSt9enable_ifIXnt26kattr_no_packed_fp32_ops_vIT_EEvE4typeEDpT2_
                                        ; -- End function
	.section	.AMDGPU.csdata,"",@progbits
; Kernel info:
; codeLenInByte = 6208
; NumSgprs: 60
; NumVgprs: 40
; NumAgprs: 0
; TotalNumVgprs: 40
; ScratchSize: 0
; MemoryBound: 0
; FloatMode: 192
; IeeeMode: 1
; LDSByteSize: 6280 bytes/workgroup (compile time only)
; SGPRBlocks: 7
; VGPRBlocks: 4
; NumSGPRsForWavesPerEU: 60
; NumVGPRsForWavesPerEU: 40
; AccumOffset: 40
; Occupancy: 8
; WaveLimiterHint : 0
; COMPUTE_PGM_RSRC2:SCRATCH_EN: 0
; COMPUTE_PGM_RSRC2:USER_SGPR: 6
; COMPUTE_PGM_RSRC2:TRAP_HANDLER: 0
; COMPUTE_PGM_RSRC2:TGID_X_EN: 1
; COMPUTE_PGM_RSRC2:TGID_Y_EN: 1
; COMPUTE_PGM_RSRC2:TGID_Z_EN: 1
; COMPUTE_PGM_RSRC2:TIDIG_COMP_CNT: 0
; COMPUTE_PGM_RSRC3_GFX90A:ACCUM_OFFSET: 9
; COMPUTE_PGM_RSRC3_GFX90A:TG_SPLIT: 0
	.section	.text._ZN7ck_tile6kentryINS_6gfx9_tELi1ENS_27FmhaFwdSplitKVCombineKernelINS_34BlockFmhaFwdSplitKVCombinePipelineINS_38BlockFmhaSplitKVCombinePipelineProblemIffDF16_Li128ELb0ELi32ENS_31TileFmhaFwdSplitKVCombineTraitsILb0ELb0ELb1ELb0ELi7ELin1EEEEENS_47BlockFmhaFwdSplitKVCombinePipelineDefaultPolicyEEENS_17Default2DEpilogueINS_24Default2DEpilogueProblemIfDF16_Lb0ELb0ELb1EEEvEEEEJNSE_14BatchModeKargsEEEENSt9enable_ifIXnt26kattr_no_packed_fp32_ops_vIT_EEvE4typeEDpT2_,"axG",@progbits,_ZN7ck_tile6kentryINS_6gfx9_tELi1ENS_27FmhaFwdSplitKVCombineKernelINS_34BlockFmhaFwdSplitKVCombinePipelineINS_38BlockFmhaSplitKVCombinePipelineProblemIffDF16_Li128ELb0ELi32ENS_31TileFmhaFwdSplitKVCombineTraitsILb0ELb0ELb1ELb0ELi7ELin1EEEEENS_47BlockFmhaFwdSplitKVCombinePipelineDefaultPolicyEEENS_17Default2DEpilogueINS_24Default2DEpilogueProblemIfDF16_Lb0ELb0ELb1EEEvEEEEJNSE_14BatchModeKargsEEEENSt9enable_ifIXnt26kattr_no_packed_fp32_ops_vIT_EEvE4typeEDpT2_,comdat
	.protected	_ZN7ck_tile6kentryINS_6gfx9_tELi1ENS_27FmhaFwdSplitKVCombineKernelINS_34BlockFmhaFwdSplitKVCombinePipelineINS_38BlockFmhaSplitKVCombinePipelineProblemIffDF16_Li128ELb0ELi32ENS_31TileFmhaFwdSplitKVCombineTraitsILb0ELb0ELb1ELb0ELi7ELin1EEEEENS_47BlockFmhaFwdSplitKVCombinePipelineDefaultPolicyEEENS_17Default2DEpilogueINS_24Default2DEpilogueProblemIfDF16_Lb0ELb0ELb1EEEvEEEEJNSE_14BatchModeKargsEEEENSt9enable_ifIXnt26kattr_no_packed_fp32_ops_vIT_EEvE4typeEDpT2_ ; -- Begin function _ZN7ck_tile6kentryINS_6gfx9_tELi1ENS_27FmhaFwdSplitKVCombineKernelINS_34BlockFmhaFwdSplitKVCombinePipelineINS_38BlockFmhaSplitKVCombinePipelineProblemIffDF16_Li128ELb0ELi32ENS_31TileFmhaFwdSplitKVCombineTraitsILb0ELb0ELb1ELb0ELi7ELin1EEEEENS_47BlockFmhaFwdSplitKVCombinePipelineDefaultPolicyEEENS_17Default2DEpilogueINS_24Default2DEpilogueProblemIfDF16_Lb0ELb0ELb1EEEvEEEEJNSE_14BatchModeKargsEEEENSt9enable_ifIXnt26kattr_no_packed_fp32_ops_vIT_EEvE4typeEDpT2_
	.globl	_ZN7ck_tile6kentryINS_6gfx9_tELi1ENS_27FmhaFwdSplitKVCombineKernelINS_34BlockFmhaFwdSplitKVCombinePipelineINS_38BlockFmhaSplitKVCombinePipelineProblemIffDF16_Li128ELb0ELi32ENS_31TileFmhaFwdSplitKVCombineTraitsILb0ELb0ELb1ELb0ELi7ELin1EEEEENS_47BlockFmhaFwdSplitKVCombinePipelineDefaultPolicyEEENS_17Default2DEpilogueINS_24Default2DEpilogueProblemIfDF16_Lb0ELb0ELb1EEEvEEEEJNSE_14BatchModeKargsEEEENSt9enable_ifIXnt26kattr_no_packed_fp32_ops_vIT_EEvE4typeEDpT2_
	.p2align	8
	.type	_ZN7ck_tile6kentryINS_6gfx9_tELi1ENS_27FmhaFwdSplitKVCombineKernelINS_34BlockFmhaFwdSplitKVCombinePipelineINS_38BlockFmhaSplitKVCombinePipelineProblemIffDF16_Li128ELb0ELi32ENS_31TileFmhaFwdSplitKVCombineTraitsILb0ELb0ELb1ELb0ELi7ELin1EEEEENS_47BlockFmhaFwdSplitKVCombinePipelineDefaultPolicyEEENS_17Default2DEpilogueINS_24Default2DEpilogueProblemIfDF16_Lb0ELb0ELb1EEEvEEEEJNSE_14BatchModeKargsEEEENSt9enable_ifIXnt26kattr_no_packed_fp32_ops_vIT_EEvE4typeEDpT2_,@function
_ZN7ck_tile6kentryINS_6gfx9_tELi1ENS_27FmhaFwdSplitKVCombineKernelINS_34BlockFmhaFwdSplitKVCombinePipelineINS_38BlockFmhaSplitKVCombinePipelineProblemIffDF16_Li128ELb0ELi32ENS_31TileFmhaFwdSplitKVCombineTraitsILb0ELb0ELb1ELb0ELi7ELin1EEEEENS_47BlockFmhaFwdSplitKVCombinePipelineDefaultPolicyEEENS_17Default2DEpilogueINS_24Default2DEpilogueProblemIfDF16_Lb0ELb0ELb1EEEvEEEEJNSE_14BatchModeKargsEEEENSt9enable_ifIXnt26kattr_no_packed_fp32_ops_vIT_EEvE4typeEDpT2_: ; @_ZN7ck_tile6kentryINS_6gfx9_tELi1ENS_27FmhaFwdSplitKVCombineKernelINS_34BlockFmhaFwdSplitKVCombinePipelineINS_38BlockFmhaSplitKVCombinePipelineProblemIffDF16_Li128ELb0ELi32ENS_31TileFmhaFwdSplitKVCombineTraitsILb0ELb0ELb1ELb0ELi7ELin1EEEEENS_47BlockFmhaFwdSplitKVCombinePipelineDefaultPolicyEEENS_17Default2DEpilogueINS_24Default2DEpilogueProblemIfDF16_Lb0ELb0ELb1EEEvEEEEJNSE_14BatchModeKargsEEEENSt9enable_ifIXnt26kattr_no_packed_fp32_ops_vIT_EEvE4typeEDpT2_
; %bb.0:
	s_load_dwordx8 s[40:47], s[4:5], 0x1c
	s_load_dwordx4 s[36:39], s[4:5], 0x0
	s_load_dwordx2 s[52:53], s[4:5], 0x10
	s_load_dwordx2 s[54:55], s[4:5], 0x3c
	;; [unrolled: 1-line block ×3, first 2 shown]
	s_load_dword s9, s[4:5], 0x60
	s_load_dwordx4 s[48:51], s[4:5], 0x50
	s_ashr_i32 s2, s6, 31
	s_mov_b32 s66, -1
	s_waitcnt lgkmcnt(0)
	s_add_i32 s0, s41, 31
	s_ashr_i32 s1, s0, 31
	s_lshr_b32 s1, s1, 27
	s_add_i32 s3, s0, s1
	s_ashr_i32 s0, s3, 5
	s_abs_i32 s1, s0
	v_cvt_f32_u32_e32 v1, s1
	s_sub_i32 s5, 0, s1
	s_ashr_i32 s4, s3, 31
	s_abs_i32 s3, s6
	v_rcp_iflag_f32_e32 v1, v1
	s_add_i32 s69, s42, 3
	v_mul_f32_e32 v1, 0x4f7ffffe, v1
	v_cvt_u32_f32_e32 v1, v1
	v_readfirstlane_b32 s10, v1
	s_mul_i32 s5, s5, s10
	s_mul_hi_u32 s5, s10, s5
	s_add_i32 s10, s10, s5
	s_mul_hi_u32 s5, s3, s10
	s_getpc_b64 s[10:11]
	s_add_u32 s10, s10, _ZN7ck_tile34BlockFmhaFwdSplitKVCombinePipelineINS_38BlockFmhaSplitKVCombinePipelineProblemIffDF16_Li128ELb0ELi32ENS_31TileFmhaFwdSplitKVCombineTraitsILb0ELb0ELb1ELb0ELi7ELin1EEEEENS_47BlockFmhaFwdSplitKVCombinePipelineDefaultPolicyEE3kM0E@rel32@lo+4
	s_addc_u32 s11, s11, _ZN7ck_tile34BlockFmhaFwdSplitKVCombinePipelineINS_38BlockFmhaSplitKVCombinePipelineProblemIffDF16_Li128ELb0ELi32ENS_31TileFmhaFwdSplitKVCombineTraitsILb0ELb0ELb1ELb0ELi7ELin1EEEEENS_47BlockFmhaFwdSplitKVCombinePipelineDefaultPolicyEE3kM0E@rel32@hi+12
	s_load_dword s64, s[10:11], 0x0
	s_ashr_i32 s10, s69, 31
	s_lshr_b32 s10, s10, 30
	s_add_i32 s10, s69, s10
	s_ashr_i32 s68, s10, 2
	s_and_b32 s65, s10, -4
.LBB5_1:                                ; =>This Inner Loop Header: Depth=1
	s_add_i32 s66, s66, 1
	s_lshl_b32 s10, 1, s66
	s_cmp_lt_u32 s10, s65
	s_cbranch_scc1 .LBB5_1
; %bb.2:
	s_mov_b32 s67, -1
.LBB5_3:                                ; =>This Inner Loop Header: Depth=1
	s_add_i32 s67, s67, 1
	s_lshl_b32 s10, 1, s67
	s_waitcnt lgkmcnt(0)
	s_cmp_lt_u32 s10, s64
	s_cbranch_scc1 .LBB5_3
; %bb.4:
	s_xor_b32 s2, s2, s4
	s_mul_i32 s4, s5, s1
	s_sub_i32 s3, s3, s4
	s_add_i32 s4, s5, 1
	s_sub_i32 s10, s3, s1
	s_cmp_ge_u32 s3, s1
	s_cselect_b32 s4, s4, s5
	s_cselect_b32 s3, s10, s3
	s_add_i32 s5, s4, 1
	s_cmp_ge_u32 s3, s1
	s_cselect_b32 s1, s5, s4
	s_xor_b32 s1, s1, s2
	s_sub_i32 s70, s1, s2
	s_mul_i32 s0, s70, s0
	s_sub_i32 s0, s6, s0
	s_lshl_b32 s6, s0, 5
	s_lshl_b64 s[0:1], 1, s66
	s_lshl_b32 s33, s70, 3
	s_mov_b32 s2, 0
	s_sub_i32 s3, s0, s65
	s_cmp_lg_u64 s[2:3], 0
	s_cbranch_scc0 .LBB5_135
; %bb.5:
	v_cvt_f32_u32_e32 v1, s65
	v_mov_b32_e32 v2, 0x4f800000
	s_sub_u32 s2, 0, s65
	s_subb_u32 s4, 0, 0
	v_mac_f32_e32 v1, 0, v2
	v_rcp_f32_e32 v1, v1
	v_mul_f32_e32 v1, 0x5f7ffffc, v1
	v_mul_f32_e32 v2, 0x2f800000, v1
	v_trunc_f32_e32 v2, v2
	v_madmk_f32 v1, v2, 0xcf800000, v1
	v_cvt_u32_f32_e32 v2, v2
	v_cvt_u32_f32_e32 v1, v1
	v_readfirstlane_b32 s5, v2
	v_readfirstlane_b32 s10, v1
	s_mul_i32 s11, s2, s5
	s_mul_hi_u32 s13, s2, s10
	s_mul_i32 s12, s4, s10
	s_add_i32 s11, s13, s11
	s_add_i32 s11, s11, s12
	s_mul_i32 s14, s2, s10
	s_mul_hi_u32 s12, s10, s11
	s_mul_i32 s13, s10, s11
	s_mul_hi_u32 s10, s10, s14
	s_add_u32 s10, s10, s13
	s_addc_u32 s12, 0, s12
	s_mul_hi_u32 s15, s5, s14
	s_mul_i32 s14, s5, s14
	s_add_u32 s10, s10, s14
	s_mul_hi_u32 s13, s5, s11
	s_addc_u32 s10, s12, s15
	s_addc_u32 s12, s13, 0
	s_mul_i32 s11, s5, s11
	s_add_u32 s10, s10, s11
	s_addc_u32 s11, 0, s12
	v_add_co_u32_e32 v1, vcc, s10, v1
	s_cmp_lg_u64 vcc, 0
	s_addc_u32 s5, s5, s11
	v_readfirstlane_b32 s11, v1
	s_mul_i32 s10, s2, s5
	s_mul_hi_u32 s12, s2, s11
	s_add_i32 s10, s12, s10
	s_mul_i32 s4, s4, s11
	s_add_i32 s10, s10, s4
	s_mul_i32 s2, s2, s11
	s_mul_hi_u32 s12, s5, s2
	s_mul_i32 s13, s5, s2
	s_mul_i32 s15, s11, s10
	s_mul_hi_u32 s2, s11, s2
	s_mul_hi_u32 s14, s11, s10
	s_add_u32 s2, s2, s15
	s_addc_u32 s11, 0, s14
	s_add_u32 s2, s2, s13
	s_mul_hi_u32 s4, s5, s10
	s_addc_u32 s2, s11, s12
	s_addc_u32 s4, s4, 0
	s_mul_i32 s10, s5, s10
	s_add_u32 s2, s2, s10
	s_addc_u32 s4, 0, s4
	v_add_co_u32_e32 v1, vcc, s2, v1
	s_cmp_lg_u64 vcc, 0
	s_addc_u32 s2, s5, s4
	v_readfirstlane_b32 s10, v1
	s_mul_i32 s5, s2, 0
	s_mul_hi_u32 s11, 0, s10
	s_mul_hi_u32 s4, 0, s2
	s_add_u32 s5, s11, s5
	s_addc_u32 s4, 0, s4
	s_mul_hi_u32 s12, s3, s10
	s_mul_i32 s10, s3, s10
	s_add_u32 s5, s5, s10
	s_mul_hi_u32 s11, s3, s2
	s_addc_u32 s4, s4, s12
	s_addc_u32 s5, s11, 0
	s_mul_i32 s2, s3, s2
	s_add_u32 s2, s4, s2
	s_addc_u32 s4, 0, s5
	s_mul_i32 s4, s65, s4
	s_mul_hi_u32 s5, s65, s2
	s_add_i32 s12, s5, s4
	s_mul_i32 s4, s65, s2
	s_add_u32 s10, s2, 1
	s_add_u32 s11, s2, 2
	v_sub_co_u32_e64 v1, s[4:5], 0, s4
	s_cmp_lg_u64 s[4:5], 0
	s_subb_u32 s3, s3, s12
	v_subrev_co_u32_e32 v2, vcc, s65, v1
	s_cmp_lg_u64 vcc, 0
	s_subb_u32 s4, s3, 0
	v_cmp_le_u32_e32 vcc, s65, v2
	s_cmp_eq_u32 s4, 0
	v_cndmask_b32_e64 v2, 0, -1, vcc
	s_cselect_b64 vcc, -1, 0
	v_cndmask_b32_e32 v2, -1, v2, vcc
	v_mov_b32_e32 v3, s10
	v_mov_b32_e32 v4, s11
	v_cmp_ne_u32_e32 vcc, 0, v2
	v_cndmask_b32_e32 v2, v3, v4, vcc
	v_cmp_le_u32_e32 vcc, s65, v1
	s_cmp_eq_u32 s3, 0
	v_cndmask_b32_e64 v1, 0, -1, vcc
	s_cselect_b64 vcc, -1, 0
	v_cndmask_b32_e32 v1, -1, v1, vcc
	v_mov_b32_e32 v3, s2
	v_cmp_ne_u32_e32 vcc, 0, v1
	v_cndmask_b32_e32 v4, v3, v2, vcc
	s_cbranch_execnz .LBB5_7
.LBB5_6:
	v_cvt_f32_u32_e32 v1, s65
	s_sub_i32 s0, 0, s65
	s_mov_b32 s1, 0
	v_rcp_iflag_f32_e32 v1, v1
	v_mul_f32_e32 v1, 0x4f7ffffe, v1
	v_cvt_u32_f32_e32 v1, v1
	v_readfirstlane_b32 s2, v1
	s_mul_i32 s0, s0, s2
	s_mul_hi_u32 s0, s2, s0
	s_add_i32 s2, s2, s0
	s_mul_hi_u32 s0, 0, s2
	s_mul_i32 s3, s0, s65
	s_sub_i32 s3, 0, s3
	s_add_i32 s2, s0, 1
	s_sub_i32 s4, s3, s65
	s_cmp_ge_u32 s3, s65
	s_cselect_b32 s0, s2, s0
	s_cselect_b32 s3, s4, s3
	s_add_i32 s2, s0, 1
	s_cmp_ge_u32 s3, s65
	s_cselect_b32 s0, s2, s0
	v_pk_mov_b32 v[4:5], s[0:1], s[0:1] op_sel:[0,1]
.LBB5_7:
	s_lshl_b64 s[0:1], 1, s67
	s_mov_b32 s2, 0
	s_sub_i32 s3, s0, s64
	s_cmp_lg_u64 s[2:3], 0
	s_cbranch_scc0 .LBB5_136
; %bb.8:
	v_cvt_f32_u32_e32 v1, s64
	v_mov_b32_e32 v2, 0x4f800000
	s_sub_u32 s2, 0, s64
	s_subb_u32 s4, 0, 0
	v_mac_f32_e32 v1, 0, v2
	v_rcp_f32_e32 v1, v1
	v_mul_f32_e32 v1, 0x5f7ffffc, v1
	v_mul_f32_e32 v2, 0x2f800000, v1
	v_trunc_f32_e32 v2, v2
	v_madmk_f32 v1, v2, 0xcf800000, v1
	v_cvt_u32_f32_e32 v2, v2
	v_cvt_u32_f32_e32 v1, v1
	v_readfirstlane_b32 s5, v2
	v_readfirstlane_b32 s10, v1
	s_mul_i32 s11, s2, s5
	s_mul_hi_u32 s13, s2, s10
	s_mul_i32 s12, s4, s10
	s_add_i32 s11, s13, s11
	s_add_i32 s11, s11, s12
	s_mul_i32 s14, s2, s10
	s_mul_hi_u32 s12, s10, s11
	s_mul_i32 s13, s10, s11
	s_mul_hi_u32 s10, s10, s14
	s_add_u32 s10, s10, s13
	s_addc_u32 s12, 0, s12
	s_mul_hi_u32 s15, s5, s14
	s_mul_i32 s14, s5, s14
	s_add_u32 s10, s10, s14
	s_mul_hi_u32 s13, s5, s11
	s_addc_u32 s10, s12, s15
	s_addc_u32 s12, s13, 0
	s_mul_i32 s11, s5, s11
	s_add_u32 s10, s10, s11
	s_addc_u32 s11, 0, s12
	v_add_co_u32_e32 v1, vcc, s10, v1
	s_cmp_lg_u64 vcc, 0
	s_addc_u32 s5, s5, s11
	v_readfirstlane_b32 s11, v1
	s_mul_i32 s10, s2, s5
	s_mul_hi_u32 s12, s2, s11
	s_add_i32 s10, s12, s10
	s_mul_i32 s4, s4, s11
	s_add_i32 s10, s10, s4
	s_mul_i32 s2, s2, s11
	s_mul_hi_u32 s12, s5, s2
	s_mul_i32 s13, s5, s2
	s_mul_i32 s15, s11, s10
	s_mul_hi_u32 s2, s11, s2
	s_mul_hi_u32 s14, s11, s10
	s_add_u32 s2, s2, s15
	s_addc_u32 s11, 0, s14
	s_add_u32 s2, s2, s13
	s_mul_hi_u32 s4, s5, s10
	s_addc_u32 s2, s11, s12
	s_addc_u32 s4, s4, 0
	s_mul_i32 s10, s5, s10
	s_add_u32 s2, s2, s10
	s_addc_u32 s4, 0, s4
	v_add_co_u32_e32 v1, vcc, s2, v1
	s_cmp_lg_u64 vcc, 0
	s_addc_u32 s2, s5, s4
	v_readfirstlane_b32 s10, v1
	s_mul_i32 s5, s2, 0
	s_mul_hi_u32 s11, 0, s10
	s_mul_hi_u32 s4, 0, s2
	s_add_u32 s5, s11, s5
	s_addc_u32 s4, 0, s4
	s_mul_hi_u32 s12, s3, s10
	s_mul_i32 s10, s3, s10
	s_add_u32 s5, s5, s10
	s_mul_hi_u32 s11, s3, s2
	s_addc_u32 s4, s4, s12
	s_addc_u32 s5, s11, 0
	s_mul_i32 s2, s3, s2
	s_add_u32 s2, s4, s2
	s_addc_u32 s4, 0, s5
	s_mul_i32 s4, s64, s4
	s_mul_hi_u32 s5, s64, s2
	s_add_i32 s12, s5, s4
	s_mul_i32 s4, s64, s2
	s_add_u32 s10, s2, 1
	s_add_u32 s11, s2, 2
	v_sub_co_u32_e64 v1, s[4:5], 0, s4
	s_cmp_lg_u64 s[4:5], 0
	s_subb_u32 s3, s3, s12
	v_subrev_co_u32_e32 v2, vcc, s64, v1
	s_cmp_lg_u64 vcc, 0
	s_subb_u32 s4, s3, 0
	v_cmp_le_u32_e32 vcc, s64, v2
	s_cmp_eq_u32 s4, 0
	v_cndmask_b32_e64 v2, 0, -1, vcc
	s_cselect_b64 vcc, -1, 0
	v_cndmask_b32_e32 v2, -1, v2, vcc
	v_mov_b32_e32 v3, s10
	v_mov_b32_e32 v5, s11
	v_cmp_ne_u32_e32 vcc, 0, v2
	v_cndmask_b32_e32 v2, v3, v5, vcc
	v_cmp_le_u32_e32 vcc, s64, v1
	s_cmp_eq_u32 s3, 0
	v_cndmask_b32_e64 v1, 0, -1, vcc
	s_cselect_b64 vcc, -1, 0
	v_cndmask_b32_e32 v1, -1, v1, vcc
	v_mov_b32_e32 v3, s2
	v_cmp_ne_u32_e32 vcc, 0, v1
	v_cndmask_b32_e32 v6, v3, v2, vcc
	s_cbranch_execnz .LBB5_10
.LBB5_9:
	v_cvt_f32_u32_e32 v1, s64
	s_sub_i32 s0, 0, s64
	s_mov_b32 s1, 0
	v_rcp_iflag_f32_e32 v1, v1
	v_mul_f32_e32 v1, 0x4f7ffffe, v1
	v_cvt_u32_f32_e32 v1, v1
	v_readfirstlane_b32 s2, v1
	s_mul_i32 s0, s0, s2
	s_mul_hi_u32 s0, s2, s0
	s_add_i32 s2, s2, s0
	s_mul_hi_u32 s0, 0, s2
	s_mul_i32 s3, s0, s64
	s_sub_i32 s3, 0, s3
	s_add_i32 s2, s0, 1
	s_sub_i32 s4, s3, s64
	s_cmp_ge_u32 s3, s64
	s_cselect_b32 s0, s2, s0
	s_cselect_b32 s3, s4, s3
	s_add_i32 s2, s0, 1
	s_cmp_ge_u32 s3, s64
	s_cselect_b32 s0, s2, s0
	v_pk_mov_b32 v[6:7], s[0:1], s[0:1] op_sel:[0,1]
.LBB5_10:
	v_lshrrev_b32_e32 v7, 6, v0
	v_readfirstlane_b32 s0, v7
	v_mbcnt_lo_u32_b32 v0, -1, 0
	v_mbcnt_hi_u32_b32 v5, -1, v0
	s_lshl_b32 s0, s0, 5
	v_lshrrev_b32_e32 v8, 1, v5
	s_and_b32 s0, s0, 0x60
	v_add_u32_e32 v9, s0, v8
	s_mov_b32 s2, 0
	v_cmp_le_i32_e32 vcc, s42, v9
	v_lshlrev_b32_e32 v10, 2, v5
	s_and_saveexec_b64 s[0:1], vcc
	s_xor_b64 s[0:1], exec, s[0:1]
; %bb.11:
	v_lshlrev_b32_e32 v10, 2, v5
                                        ; implicit-def: $vgpr9
; %bb.12:
	s_or_saveexec_b64 s[0:1], s[0:1]
	s_add_i32 s71, s42, -1
	v_mov_b32_e32 v0, s2
	v_mov_b32_e32 v1, s2
	;; [unrolled: 1-line block ×4, first 2 shown]
	s_xor_b64 exec, exec, s[0:1]
	s_cbranch_execz .LBB5_14
; %bb.13:
	s_mul_hi_i32 s5, s45, s7
	s_mul_i32 s4, s45, s7
	s_lshl_b64 s[4:5], s[4:5], 2
	s_mul_hi_i32 s3, s50, s8
	s_mul_i32 s2, s50, s8
	s_add_u32 s4, s36, s4
	s_addc_u32 s5, s37, s5
	s_lshl_b64 s[2:3], s[2:3], 2
	s_add_u32 s12, s4, s2
	s_mul_i32 s2, s54, s71
	v_and_b32_e32 v1, 4, v10
	s_addc_u32 s13, s5, s3
	s_add_i32 s2, s2, s40
	v_mul_lo_u32 v0, v9, s54
	v_add_u32_e32 v1, s33, v1
	s_lshl_b32 s14, s2, 2
	s_mov_b32 s15, 0x20000
	v_add_lshl_u32 v0, v1, v0, 2
	buffer_load_dwordx4 v[0:3], v0, s[12:15], 0 offen
.LBB5_14:
	s_or_b64 exec, exec, s[0:1]
	v_readfirstlane_b32 s0, v7
	s_lshl_b32 s0, s0, 5
	v_and_b32_e32 v9, 1, v5
	s_and_b32 s0, s0, 0x60
	v_mov_b32_e32 v11, 0x810
	v_cmp_eq_u32_e32 vcc, 1, v9
	v_add_u32_e32 v8, s0, v8
	v_cndmask_b32_e32 v9, 0, v11, vcc
	v_lshl_add_u32 v8, v8, 4, v9
	s_waitcnt vmcnt(0)
	ds_write_b128 v8, v[0:3]
	; sched_barrier mask(0x00000000)
	v_lshlrev_b32_e32 v1, 1, v5
	v_and_b32_e32 v33, 0xf0, v1
	v_cmp_gt_i32_e32 vcc, s42, v33
	v_mov_b32_e32 v36, 0xff800000
	v_bfe_i32 v0, v5, 2, 1
	v_mov_b32_e32 v38, 0xff800000
	s_waitcnt lgkmcnt(0)
	s_barrier
	s_and_saveexec_b64 s[0:1], vcc
	s_cbranch_execz .LBB5_16
; %bb.15:
	v_and_b32_e32 v2, 0x204, v0
	v_lshl_add_u32 v2, v33, 2, v2
	v_and_or_b32 v2, v5, 3, v2
	v_lshlrev_b32_e32 v2, 2, v2
	ds_read_b32 v38, v2
.LBB5_16:
	s_or_b64 exec, exec, s[0:1]
	v_or_b32_e32 v30, 1, v33
	v_cmp_gt_i32_e64 s[0:1], s42, v30
	s_and_saveexec_b64 s[2:3], s[0:1]
	s_cbranch_execz .LBB5_18
; %bb.17:
	v_and_b32_e32 v2, 0x204, v0
	v_lshl_add_u32 v2, v30, 2, v2
	v_and_or_b32 v2, v5, 3, v2
	v_lshlrev_b32_e32 v2, 2, v2
	ds_read_b32 v36, v2
.LBB5_18:
	s_or_b64 exec, exec, s[2:3]
	v_or_b32_e32 v27, 2, v33
	v_cmp_gt_i32_e64 s[2:3], s42, v27
	v_mov_b32_e32 v34, 0xff800000
	v_mov_b32_e32 v37, 0xff800000
	s_and_saveexec_b64 s[4:5], s[2:3]
	s_cbranch_execz .LBB5_20
; %bb.19:
	v_and_b32_e32 v2, 0x204, v0
	v_lshl_add_u32 v2, v27, 2, v2
	v_and_or_b32 v2, v5, 3, v2
	v_lshlrev_b32_e32 v2, 2, v2
	ds_read_b32 v37, v2
.LBB5_20:
	s_or_b64 exec, exec, s[4:5]
	v_or_b32_e32 v24, 3, v33
	v_cmp_gt_i32_e64 s[4:5], s42, v24
	s_and_saveexec_b64 s[10:11], s[4:5]
	s_cbranch_execz .LBB5_22
; %bb.21:
	v_and_b32_e32 v2, 0x204, v0
	v_lshl_add_u32 v2, v24, 2, v2
	v_and_or_b32 v2, v5, 3, v2
	v_lshlrev_b32_e32 v2, 2, v2
	ds_read_b32 v34, v2
.LBB5_22:
	s_or_b64 exec, exec, s[10:11]
	v_or_b32_e32 v20, 4, v33
	v_cmp_gt_i32_e64 s[34:35], s42, v20
	v_mov_b32_e32 v31, 0xff800000
	v_mov_b32_e32 v35, 0xff800000
	s_and_saveexec_b64 s[10:11], s[34:35]
	;; [unrolled: 26-line block ×7, first 2 shown]
	s_cbranch_execz .LBB5_44
; %bb.43:
	v_and_b32_e32 v19, 0x204, v0
	v_lshl_add_u32 v19, v2, 2, v19
	v_and_or_b32 v19, v5, 3, v19
	v_lshlrev_b32_e32 v19, 2, v19
	ds_read_b32 v19, v19
.LBB5_44:
	s_or_b64 exec, exec, s[28:29]
	v_or_b32_e32 v1, 15, v1
	v_cmp_gt_i32_e64 s[28:29], s42, v1
	s_and_saveexec_b64 s[36:37], s[28:29]
	s_cbranch_execz .LBB5_46
; %bb.45:
	v_and_b32_e32 v16, 0x204, v0
	v_lshl_add_u32 v16, v1, 2, v16
	v_and_or_b32 v16, v5, 3, v16
	v_lshlrev_b32_e32 v16, 2, v16
	ds_read_b32 v16, v16
.LBB5_46:
	s_or_b64 exec, exec, s[36:37]
	s_mov_b32 s45, 0xff800000
	s_waitcnt lgkmcnt(0)
	v_max3_f32 v21, v38, s45, v36
	v_max3_f32 v21, v21, v37, v34
	;; [unrolled: 1-line block ×8, first 2 shown]
	ds_bpermute_b32 v39, v10, v21 offset:128
	v_add_u32_e32 v41, 0x80, v10
	v_add_u32_e32 v40, 64, v10
	s_waitcnt lgkmcnt(0)
	v_max_f32_e32 v39, v39, v39
	v_max_f32_e32 v21, v21, v39
	ds_bpermute_b32 v39, v10, v21 offset:64
	s_waitcnt lgkmcnt(0)
	v_max_f32_e32 v39, v39, v39
	v_max_f32_e32 v21, v21, v39
	ds_bpermute_b32 v42, v10, v21 offset:32
	v_add_u32_e32 v39, 32, v10
	s_waitcnt lgkmcnt(0)
	v_max_f32_e32 v42, v42, v42
	v_max_f32_e32 v21, v21, v42
	v_cmp_neq_f32_e64 s[36:37], s45, v21
	v_mov_b32_e32 v42, 0
	s_and_saveexec_b64 s[58:59], s[36:37]
	s_cbranch_execz .LBB5_48
; %bb.47:
	v_sub_f32_e32 v42, v38, v21
	s_mov_b32 s50, 0x3fb8aa3b
	v_mul_f32_e32 v43, 0x3fb8aa3b, v42
	v_fma_f32 v44, v42, s50, -v43
	v_rndne_f32_e32 v43, v43
	v_fmac_f32_e32 v44, 0x32a5705f, v42
	v_mad_f32 v45, v42, s50, -v43
	v_add_f32_e32 v44, v45, v44
	v_exp_f32_e32 v44, v44
	v_cvt_i32_f32_e32 v43, v43
	s_mov_b32 s54, 0xc2ce8ed0
	v_cmp_ngt_f32_e64 s[36:37], s54, v42
	s_mov_b32 s60, 0x42b17218
	v_ldexp_f32 v43, v44, v43
	v_sub_f32_e32 v44, v36, v21
	v_mul_f32_e32 v45, 0x3fb8aa3b, v44
	v_fma_f32 v46, v44, s50, -v45
	v_rndne_f32_e32 v45, v45
	v_fmac_f32_e32 v46, 0x32a5705f, v44
	v_mad_f32 v47, v44, s50, -v45
	v_add_f32_e32 v46, v47, v46
	v_exp_f32_e32 v46, v46
	v_cvt_i32_f32_e32 v45, v45
	v_cndmask_b32_e64 v43, 0, v43, s[36:37]
	v_mov_b32_e32 v47, 0x7f800000
	v_cmp_nlt_f32_e64 s[36:37], s60, v42
	v_cndmask_b32_e64 v42, v47, v43, s[36:37]
	v_ldexp_f32 v43, v46, v45
	v_sub_f32_e32 v45, v37, v21
	v_mul_f32_e32 v46, 0x3fb8aa3b, v45
	v_fma_f32 v48, v45, s50, -v46
	v_rndne_f32_e32 v46, v46
	v_fmac_f32_e32 v48, 0x32a5705f, v45
	v_mad_f32 v49, v45, s50, -v46
	v_add_f32_e32 v48, v49, v48
	v_exp_f32_e32 v48, v48
	v_cvt_i32_f32_e32 v46, v46
	v_cmp_ngt_f32_e64 s[36:37], s54, v44
	v_cndmask_b32_e64 v43, 0, v43, s[36:37]
	v_cmp_nlt_f32_e64 s[36:37], s60, v44
	v_ldexp_f32 v44, v48, v46
	v_sub_f32_e32 v46, v34, v21
	v_mul_f32_e32 v48, 0x3fb8aa3b, v46
	v_fma_f32 v49, v46, s50, -v48
	v_rndne_f32_e32 v48, v48
	v_fmac_f32_e32 v49, 0x32a5705f, v46
	v_mad_f32 v50, v46, s50, -v48
	v_add_f32_e32 v49, v50, v49
	v_exp_f32_e32 v49, v49
	v_cvt_i32_f32_e32 v48, v48
	v_cndmask_b32_e64 v43, v47, v43, s[36:37]
	v_cmp_ngt_f32_e64 s[36:37], s54, v45
	v_cndmask_b32_e64 v44, 0, v44, s[36:37]
	v_cmp_nlt_f32_e64 s[36:37], s60, v45
	v_ldexp_f32 v45, v49, v48
	v_sub_f32_e32 v48, v35, v21
	v_mul_f32_e32 v49, 0x3fb8aa3b, v48
	v_fma_f32 v50, v48, s50, -v49
	v_rndne_f32_e32 v49, v49
	v_fmac_f32_e32 v50, 0x32a5705f, v48
	v_mad_f32 v51, v48, s50, -v49
	v_add_f32_e32 v50, v51, v50
	v_exp_f32_e32 v50, v50
	v_cvt_i32_f32_e32 v49, v49
	v_cndmask_b32_e64 v44, v47, v44, s[36:37]
	;; [unrolled: 14-line block ×11, first 2 shown]
	v_cmp_ngt_f32_e64 s[36:37], s54, v56
	v_cndmask_b32_e64 v55, 0, v55, s[36:37]
	v_cmp_nlt_f32_e64 s[36:37], s60, v56
	v_ldexp_f32 v56, v59, v58
	v_sub_f32_e32 v58, v19, v21
	v_mul_f32_e32 v59, 0x3fb8aa3b, v58
	v_fma_f32 v60, v58, s50, -v59
	v_rndne_f32_e32 v59, v59
	v_fmac_f32_e32 v60, 0x32a5705f, v58
	v_mad_f32 v61, v58, s50, -v59
	v_add_f32_e32 v60, v61, v60
	v_exp_f32_e32 v60, v60
	v_cvt_i32_f32_e32 v59, v59
	v_add_f32_e32 v42, v42, v43
	v_cndmask_b32_e64 v55, v47, v55, s[36:37]
	v_cmp_ngt_f32_e64 s[36:37], s54, v57
	v_add_f32_e32 v42, v44, v42
	v_cndmask_b32_e64 v56, 0, v56, s[36:37]
	v_cmp_nlt_f32_e64 s[36:37], s60, v57
	v_ldexp_f32 v57, v60, v59
	v_sub_f32_e32 v59, v16, v21
	v_add_f32_e32 v42, v45, v42
	v_mul_f32_e32 v60, 0x3fb8aa3b, v59
	v_add_f32_e32 v42, v46, v42
	v_fma_f32 v61, v59, s50, -v60
	v_rndne_f32_e32 v60, v60
	v_add_f32_e32 v42, v48, v42
	v_fmac_f32_e32 v61, 0x32a5705f, v59
	v_mad_f32 v62, v59, s50, -v60
	v_add_f32_e32 v42, v49, v42
	v_add_f32_e32 v61, v62, v61
	;; [unrolled: 1-line block ×3, first 2 shown]
	v_exp_f32_e32 v61, v61
	v_cvt_i32_f32_e32 v60, v60
	v_add_f32_e32 v42, v51, v42
	v_add_f32_e32 v42, v52, v42
	v_cndmask_b32_e64 v56, v47, v56, s[36:37]
	v_cmp_ngt_f32_e64 s[36:37], s54, v58
	v_add_f32_e32 v42, v53, v42
	v_cndmask_b32_e64 v57, 0, v57, s[36:37]
	v_cmp_nlt_f32_e64 s[36:37], s60, v58
	v_add_f32_e32 v42, v54, v42
	v_cndmask_b32_e64 v57, v47, v57, s[36:37]
	v_ldexp_f32 v58, v61, v60
	v_cmp_ngt_f32_e64 s[36:37], s54, v59
	v_add_f32_e32 v42, v55, v42
	v_cndmask_b32_e64 v58, 0, v58, s[36:37]
	v_cmp_nlt_f32_e64 s[36:37], s60, v59
	v_add_f32_e32 v42, v56, v42
	v_cndmask_b32_e64 v47, v47, v58, s[36:37]
	v_add_f32_e32 v42, v57, v42
	v_add_f32_e32 v42, v47, v42
.LBB5_48:
	s_or_b64 exec, exec, s[58:59]
	ds_bpermute_b32 v41, v41, v42
	s_mov_b32 s36, 0x3f317217
	s_mov_b32 s37, 0x7f800000
	s_mov_b64 s[60:61], 0
	s_waitcnt lgkmcnt(0)
	v_add_f32_e32 v41, v42, v41
	ds_bpermute_b32 v40, v40, v41
	s_barrier
	s_waitcnt lgkmcnt(0)
	v_add_f32_e32 v40, v41, v40
	ds_bpermute_b32 v39, v39, v40
	v_mov_b32_e32 v41, 0xff800000
	s_waitcnt lgkmcnt(0)
	v_add_f32_e32 v39, v40, v39
	v_log_f32_e32 v40, v39
	v_mul_f32_e32 v42, 0x3f317217, v40
	v_fma_f32 v42, v40, s36, -v42
	v_fmac_f32_e32 v42, 0x3377d1cf, v40
	v_mac_f32_e32 v42, 0x3f317217, v40
	v_cmp_lt_f32_e64 s[36:37], |v40|, s37
	v_cndmask_b32_e64 v40, v40, v42, s[36:37]
	v_add_f32_e32 v21, v21, v40
	v_cmp_neq_f32_e64 s[36:37], 0, v39
	v_cndmask_b32_e64 v21, v41, v21, s[36:37]
	v_cmp_neq_f32_e64 s[36:37], s45, v21
                                        ; implicit-def: $vgpr40
                                        ; implicit-def: $vgpr39
	s_and_saveexec_b64 s[58:59], s[36:37]
	s_xor_b64 s[58:59], exec, s[58:59]
	s_cbranch_execz .LBB5_72
; %bb.49:
	s_and_saveexec_b64 s[60:61], vcc
	s_cbranch_execz .LBB5_92
; %bb.50:
	v_sub_f32_e32 v38, v38, v21
	s_mov_b32 s36, 0x3fb8aa3b
	v_mul_f32_e32 v39, 0x3fb8aa3b, v38
	v_fma_f32 v40, v38, s36, -v39
	v_rndne_f32_e32 v39, v39
	v_fmac_f32_e32 v40, 0x32a5705f, v38
	v_mad_f32 v41, v38, s36, -v39
	v_add_f32_e32 v40, v41, v40
	v_exp_f32_e32 v40, v40
	v_cvt_i32_f32_e32 v39, v39
	s_mov_b32 s36, 0xc2ce8ed0
	v_cmp_ngt_f32_e64 s[36:37], s36, v38
	v_ldexp_f32 v39, v40, v39
	v_cndmask_b32_e64 v39, 0, v39, s[36:37]
	s_mov_b32 s36, 0x42b17218
	v_mov_b32_e32 v40, 0x7f800000
	v_cmp_nlt_f32_e64 s[36:37], s36, v38
	v_cndmask_b32_e64 v38, v40, v39, s[36:37]
	v_and_b32_e32 v39, 0x204, v0
	v_lshl_add_u32 v33, v33, 2, v39
	v_and_or_b32 v33, v5, 3, v33
	v_lshlrev_b32_e32 v33, 2, v33
	ds_write_b32 v33, v38
	s_or_b64 exec, exec, s[60:61]
	s_and_saveexec_b64 s[60:61], s[0:1]
	s_cbranch_execnz .LBB5_93
.LBB5_51:
	s_or_b64 exec, exec, s[60:61]
	s_and_saveexec_b64 s[60:61], s[2:3]
	s_cbranch_execz .LBB5_94
.LBB5_52:
	v_sub_f32_e32 v30, v37, v21
	s_mov_b32 s36, 0x3fb8aa3b
	v_mul_f32_e32 v33, 0x3fb8aa3b, v30
	v_fma_f32 v36, v30, s36, -v33
	v_rndne_f32_e32 v33, v33
	v_fmac_f32_e32 v36, 0x32a5705f, v30
	v_mad_f32 v37, v30, s36, -v33
	v_add_f32_e32 v36, v37, v36
	v_exp_f32_e32 v36, v36
	v_cvt_i32_f32_e32 v33, v33
	s_mov_b32 s36, 0xc2ce8ed0
	v_cmp_ngt_f32_e64 s[36:37], s36, v30
	v_ldexp_f32 v33, v36, v33
	v_cndmask_b32_e64 v33, 0, v33, s[36:37]
	s_mov_b32 s36, 0x42b17218
	v_mov_b32_e32 v36, 0x7f800000
	v_cmp_nlt_f32_e64 s[36:37], s36, v30
	v_cndmask_b32_e64 v30, v36, v33, s[36:37]
	v_and_b32_e32 v33, 0x204, v0
	v_lshl_add_u32 v27, v27, 2, v33
	v_and_or_b32 v27, v5, 3, v27
	v_lshlrev_b32_e32 v27, 2, v27
	ds_write_b32 v27, v30
	s_or_b64 exec, exec, s[60:61]
	s_and_saveexec_b64 s[60:61], s[4:5]
	s_cbranch_execnz .LBB5_95
.LBB5_53:
	s_or_b64 exec, exec, s[60:61]
	s_and_saveexec_b64 s[60:61], s[34:35]
	s_cbranch_execz .LBB5_96
.LBB5_54:
	v_sub_f32_e32 v24, v35, v21
	s_mov_b32 s36, 0x3fb8aa3b
	v_mul_f32_e32 v27, 0x3fb8aa3b, v24
	v_fma_f32 v30, v24, s36, -v27
	v_rndne_f32_e32 v27, v27
	v_fmac_f32_e32 v30, 0x32a5705f, v24
	v_mad_f32 v33, v24, s36, -v27
	v_add_f32_e32 v30, v33, v30
	v_exp_f32_e32 v30, v30
	v_cvt_i32_f32_e32 v27, v27
	s_mov_b32 s36, 0xc2ce8ed0
	v_cmp_ngt_f32_e64 s[36:37], s36, v24
	v_ldexp_f32 v27, v30, v27
	v_cndmask_b32_e64 v27, 0, v27, s[36:37]
	s_mov_b32 s36, 0x42b17218
	v_mov_b32_e32 v30, 0x7f800000
	v_cmp_nlt_f32_e64 s[36:37], s36, v24
	v_cndmask_b32_e64 v24, v30, v27, s[36:37]
	v_and_b32_e32 v27, 0x204, v0
	v_lshl_add_u32 v20, v20, 2, v27
	v_and_or_b32 v20, v5, 3, v20
	v_lshlrev_b32_e32 v20, 2, v20
	ds_write_b32 v20, v24
	s_or_b64 exec, exec, s[60:61]
	s_and_saveexec_b64 s[60:61], s[30:31]
	s_cbranch_execnz .LBB5_97
.LBB5_55:
	s_or_b64 exec, exec, s[60:61]
	s_and_saveexec_b64 s[60:61], s[10:11]
	s_cbranch_execz .LBB5_98
.LBB5_56:
	v_sub_f32_e32 v17, v32, v21
	s_mov_b32 s36, 0x3fb8aa3b
	v_mul_f32_e32 v20, 0x3fb8aa3b, v17
	v_fma_f32 v24, v17, s36, -v20
	v_rndne_f32_e32 v20, v20
	v_fmac_f32_e32 v24, 0x32a5705f, v17
	v_mad_f32 v27, v17, s36, -v20
	v_add_f32_e32 v24, v27, v24
	v_exp_f32_e32 v24, v24
	v_cvt_i32_f32_e32 v20, v20
	s_mov_b32 s36, 0xc2ce8ed0
	v_cmp_ngt_f32_e64 s[36:37], s36, v17
	v_ldexp_f32 v20, v24, v20
	v_cndmask_b32_e64 v20, 0, v20, s[36:37]
	s_mov_b32 s36, 0x42b17218
	v_mov_b32_e32 v24, 0x7f800000
	v_cmp_nlt_f32_e64 s[36:37], s36, v17
	v_cndmask_b32_e64 v17, v24, v20, s[36:37]
	v_and_b32_e32 v20, 0x204, v0
	v_lshl_add_u32 v15, v15, 2, v20
	v_and_or_b32 v15, v5, 3, v15
	v_lshlrev_b32_e32 v15, 2, v15
	ds_write_b32 v15, v17
	s_or_b64 exec, exec, s[60:61]
	s_and_saveexec_b64 s[60:61], s[12:13]
	s_cbranch_execnz .LBB5_99
.LBB5_57:
	s_or_b64 exec, exec, s[60:61]
	s_and_saveexec_b64 s[60:61], s[14:15]
	s_cbranch_execz .LBB5_100
.LBB5_58:
	v_sub_f32_e32 v14, v29, v21
	s_mov_b32 s36, 0x3fb8aa3b
	v_mul_f32_e32 v15, 0x3fb8aa3b, v14
	v_fma_f32 v17, v14, s36, -v15
	v_rndne_f32_e32 v15, v15
	v_fmac_f32_e32 v17, 0x32a5705f, v14
	v_mad_f32 v20, v14, s36, -v15
	v_add_f32_e32 v17, v20, v17
	v_exp_f32_e32 v17, v17
	v_cvt_i32_f32_e32 v15, v15
	s_mov_b32 s36, 0xc2ce8ed0
	v_cmp_ngt_f32_e64 s[36:37], s36, v14
	v_ldexp_f32 v15, v17, v15
	v_cndmask_b32_e64 v15, 0, v15, s[36:37]
	s_mov_b32 s36, 0x42b17218
	v_mov_b32_e32 v17, 0x7f800000
	v_cmp_nlt_f32_e64 s[36:37], s36, v14
	v_cndmask_b32_e64 v14, v17, v15, s[36:37]
	v_and_b32_e32 v15, 0x204, v0
	v_lshl_add_u32 v13, v13, 2, v15
	v_and_or_b32 v13, v5, 3, v13
	v_lshlrev_b32_e32 v13, 2, v13
	ds_write_b32 v13, v14
	s_or_b64 exec, exec, s[60:61]
	s_and_saveexec_b64 s[60:61], s[16:17]
	s_cbranch_execnz .LBB5_101
.LBB5_59:
	s_or_b64 exec, exec, s[60:61]
	s_and_saveexec_b64 s[60:61], s[18:19]
	s_cbranch_execz .LBB5_102
.LBB5_60:
	v_sub_f32_e32 v12, v26, v21
	s_mov_b32 s36, 0x3fb8aa3b
	v_mul_f32_e32 v13, 0x3fb8aa3b, v12
	v_fma_f32 v14, v12, s36, -v13
	v_rndne_f32_e32 v13, v13
	v_fmac_f32_e32 v14, 0x32a5705f, v12
	v_mad_f32 v15, v12, s36, -v13
	v_add_f32_e32 v14, v15, v14
	v_exp_f32_e32 v14, v14
	v_cvt_i32_f32_e32 v13, v13
	s_mov_b32 s36, 0xc2ce8ed0
	v_cmp_ngt_f32_e64 s[36:37], s36, v12
	v_ldexp_f32 v13, v14, v13
	v_cndmask_b32_e64 v13, 0, v13, s[36:37]
	s_mov_b32 s36, 0x42b17218
	v_mov_b32_e32 v14, 0x7f800000
	v_cmp_nlt_f32_e64 s[36:37], s36, v12
	v_cndmask_b32_e64 v12, v14, v13, s[36:37]
	v_and_b32_e32 v13, 0x204, v0
	v_lshl_add_u32 v11, v11, 2, v13
	v_and_or_b32 v11, v5, 3, v11
	v_lshlrev_b32_e32 v11, 2, v11
	ds_write_b32 v11, v12
	s_or_b64 exec, exec, s[60:61]
	s_and_saveexec_b64 s[60:61], s[20:21]
	s_cbranch_execnz .LBB5_103
.LBB5_61:
	s_or_b64 exec, exec, s[60:61]
	s_and_saveexec_b64 s[60:61], s[22:23]
	s_cbranch_execz .LBB5_104
.LBB5_62:
	v_sub_f32_e32 v9, v23, v21
	s_mov_b32 s36, 0x3fb8aa3b
	v_mul_f32_e32 v11, 0x3fb8aa3b, v9
	v_fma_f32 v12, v9, s36, -v11
	v_rndne_f32_e32 v11, v11
	v_fmac_f32_e32 v12, 0x32a5705f, v9
	v_mad_f32 v13, v9, s36, -v11
	v_add_f32_e32 v12, v13, v12
	v_exp_f32_e32 v12, v12
	v_cvt_i32_f32_e32 v11, v11
	s_mov_b32 s36, 0xc2ce8ed0
	v_cmp_ngt_f32_e64 s[36:37], s36, v9
	v_ldexp_f32 v11, v12, v11
	v_cndmask_b32_e64 v11, 0, v11, s[36:37]
	s_mov_b32 s36, 0x42b17218
	v_mov_b32_e32 v12, 0x7f800000
	v_cmp_nlt_f32_e64 s[36:37], s36, v9
	v_cndmask_b32_e64 v9, v12, v11, s[36:37]
	v_and_b32_e32 v11, 0x204, v0
	v_lshl_add_u32 v8, v8, 2, v11
	v_and_or_b32 v8, v5, 3, v8
	v_lshlrev_b32_e32 v8, 2, v8
	ds_write_b32 v8, v9
	s_or_b64 exec, exec, s[60:61]
	s_and_saveexec_b64 s[60:61], s[24:25]
	s_cbranch_execnz .LBB5_105
.LBB5_63:
	s_or_b64 exec, exec, s[60:61]
	s_and_saveexec_b64 s[60:61], s[26:27]
	s_cbranch_execz .LBB5_65
.LBB5_64:
	v_sub_f32_e32 v3, v19, v21
	s_mov_b32 s36, 0x3fb8aa3b
	v_mul_f32_e32 v8, 0x3fb8aa3b, v3
	v_fma_f32 v9, v3, s36, -v8
	v_rndne_f32_e32 v8, v8
	v_fmac_f32_e32 v9, 0x32a5705f, v3
	v_mad_f32 v11, v3, s36, -v8
	v_add_f32_e32 v9, v11, v9
	v_exp_f32_e32 v9, v9
	v_cvt_i32_f32_e32 v8, v8
	s_mov_b32 s36, 0xc2ce8ed0
	v_cmp_ngt_f32_e64 s[36:37], s36, v3
	v_ldexp_f32 v8, v9, v8
	v_cndmask_b32_e64 v8, 0, v8, s[36:37]
	s_mov_b32 s36, 0x42b17218
	v_mov_b32_e32 v9, 0x7f800000
	v_cmp_nlt_f32_e64 s[36:37], s36, v3
	v_cndmask_b32_e64 v3, v9, v8, s[36:37]
	v_and_b32_e32 v8, 0x204, v0
	v_lshl_add_u32 v2, v2, 2, v8
	v_and_or_b32 v2, v5, 3, v2
	v_lshlrev_b32_e32 v2, 2, v2
	ds_write_b32 v2, v3
.LBB5_65:
	s_or_b64 exec, exec, s[60:61]
	s_mov_b64 s[60:61], 0
                                        ; implicit-def: $vgpr40
                                        ; implicit-def: $vgpr39
	s_and_saveexec_b64 s[36:37], s[28:29]
	s_xor_b64 s[62:63], exec, s[36:37]
	s_cbranch_execz .LBB5_67
; %bb.66:
	v_sub_f32_e32 v2, v16, v21
	s_mov_b32 s36, 0x3fb8aa3b
	v_mul_f32_e32 v3, 0x3fb8aa3b, v2
	v_fma_f32 v8, v2, s36, -v3
	v_rndne_f32_e32 v3, v3
	v_fmac_f32_e32 v8, 0x32a5705f, v2
	v_mad_f32 v9, v2, s36, -v3
	v_add_f32_e32 v8, v9, v8
	v_exp_f32_e32 v8, v8
	v_cvt_i32_f32_e32 v3, v3
	s_mov_b32 s36, 0xc2ce8ed0
	v_cmp_ngt_f32_e64 s[36:37], s36, v2
	v_and_b32_e32 v0, 0x204, v0
	v_ldexp_f32 v3, v8, v3
	v_cndmask_b32_e64 v3, 0, v3, s[36:37]
	s_mov_b32 s36, 0x42b17218
	v_mov_b32_e32 v8, 0x7f800000
	v_cmp_nlt_f32_e64 s[36:37], s36, v2
	v_lshl_add_u32 v0, v1, 2, v0
	s_mov_b64 s[60:61], exec
	v_cndmask_b32_e64 v40, v8, v3, s[36:37]
	v_and_or_b32 v39, v5, 3, v0
.LBB5_67:
	s_or_b64 exec, exec, s[62:63]
	s_and_b64 s[60:61], s[60:61], exec
                                        ; implicit-def: $vgpr33
                                        ; implicit-def: $vgpr30
                                        ; implicit-def: $vgpr27
                                        ; implicit-def: $vgpr24
                                        ; implicit-def: $vgpr20
                                        ; implicit-def: $vgpr17
                                        ; implicit-def: $vgpr15
                                        ; implicit-def: $vgpr14
                                        ; implicit-def: $vgpr13
                                        ; implicit-def: $vgpr12
                                        ; implicit-def: $vgpr11
                                        ; implicit-def: $vgpr9
                                        ; implicit-def: $vgpr8
                                        ; implicit-def: $vgpr3
                                        ; implicit-def: $vgpr2
                                        ; implicit-def: $vgpr1
                                        ; implicit-def: $vgpr0
	s_andn2_saveexec_b64 s[36:37], s[58:59]
	s_cbranch_execnz .LBB5_73
.LBB5_68:
	s_or_b64 exec, exec, s[36:37]
	s_and_saveexec_b64 s[0:1], s[60:61]
	s_cbranch_execz .LBB5_70
.LBB5_69:
	v_lshlrev_b32_e32 v0, 2, v39
	ds_write_b32 v0, v40
.LBB5_70:
	s_or_b64 exec, exec, s[0:1]
	s_mul_hi_i32 s3, s48, s7
	s_mul_i32 s2, s48, s7
	s_lshl_b64 s[2:3], s[2:3], 2
	s_mul_hi_i32 s1, s49, s8
	s_mul_i32 s0, s49, s8
	s_add_u32 s2, s56, s2
	s_addc_u32 s3, s57, s3
	s_lshl_b64 s[0:1], s[0:1], 2
	s_add_u32 s12, s2, s0
	v_and_b32_e32 v9, 7, v5
	s_addc_u32 s13, s3, s1
	s_lshl_b32 s14, s40, 2
	s_mov_b32 s15, 0x20000
	v_add_lshl_u32 v0, v9, s33, 2
	s_mov_b32 s3, 0
	v_readfirstlane_b32 s2, v7
	buffer_store_dword v21, v0, s[12:15], 0 offen
	; sched_barrier mask(0x00000000)
	s_cmp_gt_i32 s69, 3
	v_lshrrev_b32_e32 v12, 5, v5
	s_waitcnt lgkmcnt(0)
	s_barrier
	s_cbranch_scc1 .LBB5_106
; %bb.71:
	v_lshrrev_b32_e32 v8, 5, v5
	s_mov_b64 s[0:1], 0
	s_branch .LBB5_107
.LBB5_72:
	s_andn2_saveexec_b64 s[36:37], s[58:59]
	s_cbranch_execz .LBB5_68
.LBB5_73:
	s_and_saveexec_b64 s[58:59], vcc
	s_cbranch_execz .LBB5_119
; %bb.74:
	v_and_b32_e32 v16, 0x204, v0
	v_lshl_add_u32 v16, v33, 2, v16
	v_and_or_b32 v16, v5, 3, v16
	v_lshlrev_b32_e32 v16, 2, v16
	v_mov_b32_e32 v18, 0
	ds_write_b32 v16, v18
	s_or_b64 exec, exec, s[58:59]
	s_and_saveexec_b64 s[58:59], s[0:1]
	s_cbranch_execnz .LBB5_120
.LBB5_75:
	s_or_b64 exec, exec, s[58:59]
	s_and_saveexec_b64 s[0:1], s[2:3]
	s_cbranch_execz .LBB5_121
.LBB5_76:
	v_and_b32_e32 v16, 0x204, v0
	v_lshl_add_u32 v16, v27, 2, v16
	v_and_or_b32 v16, v5, 3, v16
	v_lshlrev_b32_e32 v16, 2, v16
	v_mov_b32_e32 v18, 0
	ds_write_b32 v16, v18
	s_or_b64 exec, exec, s[0:1]
	s_and_saveexec_b64 s[0:1], s[4:5]
	s_cbranch_execnz .LBB5_122
.LBB5_77:
	s_or_b64 exec, exec, s[0:1]
	s_and_saveexec_b64 s[0:1], s[34:35]
	s_cbranch_execz .LBB5_123
.LBB5_78:
	v_and_b32_e32 v16, 0x204, v0
	v_lshl_add_u32 v16, v20, 2, v16
	v_and_or_b32 v16, v5, 3, v16
	v_lshlrev_b32_e32 v16, 2, v16
	v_mov_b32_e32 v18, 0
	ds_write_b32 v16, v18
	s_or_b64 exec, exec, s[0:1]
	s_and_saveexec_b64 s[0:1], s[30:31]
	s_cbranch_execnz .LBB5_124
.LBB5_79:
	s_or_b64 exec, exec, s[0:1]
	s_and_saveexec_b64 s[0:1], s[10:11]
	s_cbranch_execz .LBB5_125
.LBB5_80:
	v_and_b32_e32 v16, 0x204, v0
	v_lshl_add_u32 v15, v15, 2, v16
	v_and_or_b32 v15, v5, 3, v15
	v_lshlrev_b32_e32 v15, 2, v15
	v_mov_b32_e32 v16, 0
	ds_write_b32 v15, v16
	s_or_b64 exec, exec, s[0:1]
	s_and_saveexec_b64 s[0:1], s[12:13]
	s_cbranch_execnz .LBB5_126
.LBB5_81:
	s_or_b64 exec, exec, s[0:1]
	s_and_saveexec_b64 s[0:1], s[14:15]
	s_cbranch_execz .LBB5_127
.LBB5_82:
	v_and_b32_e32 v14, 0x204, v0
	v_lshl_add_u32 v13, v13, 2, v14
	v_and_or_b32 v13, v5, 3, v13
	v_lshlrev_b32_e32 v13, 2, v13
	v_mov_b32_e32 v14, 0
	ds_write_b32 v13, v14
	s_or_b64 exec, exec, s[0:1]
	s_and_saveexec_b64 s[0:1], s[16:17]
	s_cbranch_execnz .LBB5_128
.LBB5_83:
	s_or_b64 exec, exec, s[0:1]
	s_and_saveexec_b64 s[0:1], s[18:19]
	s_cbranch_execz .LBB5_129
.LBB5_84:
	v_and_b32_e32 v12, 0x204, v0
	v_lshl_add_u32 v11, v11, 2, v12
	v_and_or_b32 v11, v5, 3, v11
	v_lshlrev_b32_e32 v11, 2, v11
	v_mov_b32_e32 v12, 0
	ds_write_b32 v11, v12
	s_or_b64 exec, exec, s[0:1]
	s_and_saveexec_b64 s[0:1], s[20:21]
	s_cbranch_execnz .LBB5_130
.LBB5_85:
	s_or_b64 exec, exec, s[0:1]
	s_and_saveexec_b64 s[0:1], s[22:23]
	s_cbranch_execz .LBB5_131
.LBB5_86:
	v_and_b32_e32 v9, 0x204, v0
	v_lshl_add_u32 v8, v8, 2, v9
	v_and_or_b32 v8, v5, 3, v8
	v_lshlrev_b32_e32 v8, 2, v8
	v_mov_b32_e32 v9, 0
	ds_write_b32 v8, v9
	s_or_b64 exec, exec, s[0:1]
	s_and_saveexec_b64 s[0:1], s[24:25]
	s_cbranch_execnz .LBB5_132
.LBB5_87:
	s_or_b64 exec, exec, s[0:1]
	s_and_saveexec_b64 s[0:1], s[26:27]
	s_cbranch_execz .LBB5_89
.LBB5_88:
	v_and_b32_e32 v3, 0x204, v0
	v_lshl_add_u32 v2, v2, 2, v3
	v_and_or_b32 v2, v5, 3, v2
	v_lshlrev_b32_e32 v2, 2, v2
	v_mov_b32_e32 v3, 0
	ds_write_b32 v2, v3
.LBB5_89:
	s_or_b64 exec, exec, s[0:1]
	s_mov_b64 s[0:1], s[60:61]
                                        ; implicit-def: $sgpr4
                                        ; implicit-def: $vgpr39
	s_and_saveexec_b64 s[2:3], s[28:29]
; %bb.90:
	v_and_b32_e32 v0, 0x204, v0
	v_lshl_add_u32 v0, v1, 2, v0
	v_and_or_b32 v39, v5, 3, v0
	s_mov_b32 s4, 0
	s_or_b64 s[0:1], s[60:61], exec
; %bb.91:
	s_or_b64 exec, exec, s[2:3]
	s_andn2_b64 s[2:3], s[60:61], exec
	s_and_b64 s[0:1], s[0:1], exec
	v_mov_b32_e32 v40, s4
	s_or_b64 s[60:61], s[2:3], s[0:1]
	s_or_b64 exec, exec, s[36:37]
	s_and_saveexec_b64 s[0:1], s[60:61]
	s_cbranch_execnz .LBB5_69
	s_branch .LBB5_70
.LBB5_92:
	s_or_b64 exec, exec, s[60:61]
	s_and_saveexec_b64 s[60:61], s[0:1]
	s_cbranch_execz .LBB5_51
.LBB5_93:
	v_sub_f32_e32 v33, v36, v21
	s_mov_b32 s36, 0x3fb8aa3b
	v_mul_f32_e32 v36, 0x3fb8aa3b, v33
	v_fma_f32 v38, v33, s36, -v36
	v_rndne_f32_e32 v36, v36
	v_fmac_f32_e32 v38, 0x32a5705f, v33
	v_mad_f32 v39, v33, s36, -v36
	v_add_f32_e32 v38, v39, v38
	v_exp_f32_e32 v38, v38
	v_cvt_i32_f32_e32 v36, v36
	s_mov_b32 s36, 0xc2ce8ed0
	v_cmp_ngt_f32_e64 s[36:37], s36, v33
	v_ldexp_f32 v36, v38, v36
	v_cndmask_b32_e64 v36, 0, v36, s[36:37]
	s_mov_b32 s36, 0x42b17218
	v_mov_b32_e32 v38, 0x7f800000
	v_cmp_nlt_f32_e64 s[36:37], s36, v33
	v_cndmask_b32_e64 v33, v38, v36, s[36:37]
	v_and_b32_e32 v36, 0x204, v0
	v_lshl_add_u32 v30, v30, 2, v36
	v_and_or_b32 v30, v5, 3, v30
	v_lshlrev_b32_e32 v30, 2, v30
	ds_write_b32 v30, v33
	s_or_b64 exec, exec, s[60:61]
	s_and_saveexec_b64 s[60:61], s[2:3]
	s_cbranch_execnz .LBB5_52
.LBB5_94:
	s_or_b64 exec, exec, s[60:61]
	s_and_saveexec_b64 s[60:61], s[4:5]
	s_cbranch_execz .LBB5_53
.LBB5_95:
	v_sub_f32_e32 v27, v34, v21
	s_mov_b32 s36, 0x3fb8aa3b
	v_mul_f32_e32 v30, 0x3fb8aa3b, v27
	v_fma_f32 v33, v27, s36, -v30
	v_rndne_f32_e32 v30, v30
	v_fmac_f32_e32 v33, 0x32a5705f, v27
	v_mad_f32 v34, v27, s36, -v30
	v_add_f32_e32 v33, v34, v33
	v_exp_f32_e32 v33, v33
	v_cvt_i32_f32_e32 v30, v30
	s_mov_b32 s36, 0xc2ce8ed0
	v_cmp_ngt_f32_e64 s[36:37], s36, v27
	v_ldexp_f32 v30, v33, v30
	v_cndmask_b32_e64 v30, 0, v30, s[36:37]
	s_mov_b32 s36, 0x42b17218
	v_mov_b32_e32 v33, 0x7f800000
	v_cmp_nlt_f32_e64 s[36:37], s36, v27
	v_cndmask_b32_e64 v27, v33, v30, s[36:37]
	v_and_b32_e32 v30, 0x204, v0
	v_lshl_add_u32 v24, v24, 2, v30
	v_and_or_b32 v24, v5, 3, v24
	v_lshlrev_b32_e32 v24, 2, v24
	ds_write_b32 v24, v27
	s_or_b64 exec, exec, s[60:61]
	s_and_saveexec_b64 s[60:61], s[34:35]
	s_cbranch_execnz .LBB5_54
.LBB5_96:
	s_or_b64 exec, exec, s[60:61]
	s_and_saveexec_b64 s[60:61], s[30:31]
	s_cbranch_execz .LBB5_55
.LBB5_97:
	v_sub_f32_e32 v20, v31, v21
	s_mov_b32 s36, 0x3fb8aa3b
	v_mul_f32_e32 v24, 0x3fb8aa3b, v20
	v_fma_f32 v27, v20, s36, -v24
	v_rndne_f32_e32 v24, v24
	v_fmac_f32_e32 v27, 0x32a5705f, v20
	v_mad_f32 v30, v20, s36, -v24
	v_add_f32_e32 v27, v30, v27
	v_exp_f32_e32 v27, v27
	v_cvt_i32_f32_e32 v24, v24
	s_mov_b32 s36, 0xc2ce8ed0
	v_cmp_ngt_f32_e64 s[36:37], s36, v20
	v_ldexp_f32 v24, v27, v24
	v_cndmask_b32_e64 v24, 0, v24, s[36:37]
	s_mov_b32 s36, 0x42b17218
	v_mov_b32_e32 v27, 0x7f800000
	v_cmp_nlt_f32_e64 s[36:37], s36, v20
	v_cndmask_b32_e64 v20, v27, v24, s[36:37]
	v_and_b32_e32 v24, 0x204, v0
	v_lshl_add_u32 v17, v17, 2, v24
	v_and_or_b32 v17, v5, 3, v17
	v_lshlrev_b32_e32 v17, 2, v17
	ds_write_b32 v17, v20
	s_or_b64 exec, exec, s[60:61]
	s_and_saveexec_b64 s[60:61], s[10:11]
	s_cbranch_execnz .LBB5_56
.LBB5_98:
	s_or_b64 exec, exec, s[60:61]
	s_and_saveexec_b64 s[60:61], s[12:13]
	s_cbranch_execz .LBB5_57
.LBB5_99:
	v_sub_f32_e32 v15, v28, v21
	s_mov_b32 s36, 0x3fb8aa3b
	v_mul_f32_e32 v17, 0x3fb8aa3b, v15
	v_fma_f32 v20, v15, s36, -v17
	v_rndne_f32_e32 v17, v17
	v_fmac_f32_e32 v20, 0x32a5705f, v15
	v_mad_f32 v24, v15, s36, -v17
	v_add_f32_e32 v20, v24, v20
	v_exp_f32_e32 v20, v20
	v_cvt_i32_f32_e32 v17, v17
	s_mov_b32 s36, 0xc2ce8ed0
	v_cmp_ngt_f32_e64 s[36:37], s36, v15
	v_ldexp_f32 v17, v20, v17
	v_cndmask_b32_e64 v17, 0, v17, s[36:37]
	s_mov_b32 s36, 0x42b17218
	v_mov_b32_e32 v20, 0x7f800000
	v_cmp_nlt_f32_e64 s[36:37], s36, v15
	v_cndmask_b32_e64 v15, v20, v17, s[36:37]
	v_and_b32_e32 v17, 0x204, v0
	v_lshl_add_u32 v14, v14, 2, v17
	v_and_or_b32 v14, v5, 3, v14
	v_lshlrev_b32_e32 v14, 2, v14
	ds_write_b32 v14, v15
	s_or_b64 exec, exec, s[60:61]
	s_and_saveexec_b64 s[60:61], s[14:15]
	s_cbranch_execnz .LBB5_58
.LBB5_100:
	s_or_b64 exec, exec, s[60:61]
	s_and_saveexec_b64 s[60:61], s[16:17]
	s_cbranch_execz .LBB5_59
.LBB5_101:
	v_sub_f32_e32 v13, v25, v21
	s_mov_b32 s36, 0x3fb8aa3b
	v_mul_f32_e32 v14, 0x3fb8aa3b, v13
	v_fma_f32 v15, v13, s36, -v14
	v_rndne_f32_e32 v14, v14
	v_fmac_f32_e32 v15, 0x32a5705f, v13
	v_mad_f32 v17, v13, s36, -v14
	v_add_f32_e32 v15, v17, v15
	v_exp_f32_e32 v15, v15
	v_cvt_i32_f32_e32 v14, v14
	s_mov_b32 s36, 0xc2ce8ed0
	v_cmp_ngt_f32_e64 s[36:37], s36, v13
	v_ldexp_f32 v14, v15, v14
	v_cndmask_b32_e64 v14, 0, v14, s[36:37]
	s_mov_b32 s36, 0x42b17218
	v_mov_b32_e32 v15, 0x7f800000
	v_cmp_nlt_f32_e64 s[36:37], s36, v13
	v_cndmask_b32_e64 v13, v15, v14, s[36:37]
	v_and_b32_e32 v14, 0x204, v0
	v_lshl_add_u32 v12, v12, 2, v14
	v_and_or_b32 v12, v5, 3, v12
	v_lshlrev_b32_e32 v12, 2, v12
	ds_write_b32 v12, v13
	s_or_b64 exec, exec, s[60:61]
	s_and_saveexec_b64 s[60:61], s[18:19]
	s_cbranch_execnz .LBB5_60
.LBB5_102:
	s_or_b64 exec, exec, s[60:61]
	s_and_saveexec_b64 s[60:61], s[20:21]
	s_cbranch_execz .LBB5_61
.LBB5_103:
	v_sub_f32_e32 v11, v22, v21
	s_mov_b32 s36, 0x3fb8aa3b
	v_mul_f32_e32 v12, 0x3fb8aa3b, v11
	v_fma_f32 v13, v11, s36, -v12
	v_rndne_f32_e32 v12, v12
	v_fmac_f32_e32 v13, 0x32a5705f, v11
	v_mad_f32 v14, v11, s36, -v12
	v_add_f32_e32 v13, v14, v13
	v_exp_f32_e32 v13, v13
	v_cvt_i32_f32_e32 v12, v12
	s_mov_b32 s36, 0xc2ce8ed0
	v_cmp_ngt_f32_e64 s[36:37], s36, v11
	v_ldexp_f32 v12, v13, v12
	v_cndmask_b32_e64 v12, 0, v12, s[36:37]
	s_mov_b32 s36, 0x42b17218
	v_mov_b32_e32 v13, 0x7f800000
	v_cmp_nlt_f32_e64 s[36:37], s36, v11
	v_cndmask_b32_e64 v11, v13, v12, s[36:37]
	v_and_b32_e32 v12, 0x204, v0
	v_lshl_add_u32 v9, v9, 2, v12
	v_and_or_b32 v9, v5, 3, v9
	v_lshlrev_b32_e32 v9, 2, v9
	ds_write_b32 v9, v11
	s_or_b64 exec, exec, s[60:61]
	s_and_saveexec_b64 s[60:61], s[22:23]
	s_cbranch_execnz .LBB5_62
.LBB5_104:
	s_or_b64 exec, exec, s[60:61]
	s_and_saveexec_b64 s[60:61], s[24:25]
	s_cbranch_execz .LBB5_63
.LBB5_105:
	v_sub_f32_e32 v8, v18, v21
	s_mov_b32 s36, 0x3fb8aa3b
	v_mul_f32_e32 v9, 0x3fb8aa3b, v8
	v_fma_f32 v11, v8, s36, -v9
	v_rndne_f32_e32 v9, v9
	v_fmac_f32_e32 v11, 0x32a5705f, v8
	v_mad_f32 v12, v8, s36, -v9
	v_add_f32_e32 v11, v12, v11
	v_exp_f32_e32 v11, v11
	v_cvt_i32_f32_e32 v9, v9
	s_mov_b32 s36, 0xc2ce8ed0
	v_cmp_ngt_f32_e64 s[36:37], s36, v8
	v_ldexp_f32 v9, v11, v9
	v_cndmask_b32_e64 v9, 0, v9, s[36:37]
	s_mov_b32 s36, 0x42b17218
	v_mov_b32_e32 v11, 0x7f800000
	v_cmp_nlt_f32_e64 s[36:37], s36, v8
	v_cndmask_b32_e64 v8, v11, v9, s[36:37]
	v_and_b32_e32 v9, 0x204, v0
	v_lshl_add_u32 v3, v3, 2, v9
	v_and_or_b32 v3, v5, 3, v3
	v_lshlrev_b32_e32 v3, 2, v3
	ds_write_b32 v3, v8
	s_or_b64 exec, exec, s[60:61]
	s_and_saveexec_b64 s[60:61], s[26:27]
	s_cbranch_execnz .LBB5_64
	s_branch .LBB5_65
.LBB5_106:
	s_mov_b64 s[0:1], -1
                                        ; implicit-def: $sgpr3
                                        ; implicit-def: $vgpr8
.LBB5_107:
	s_add_i32 s10, s40, -1
	v_lshrrev_b32_e32 v11, 3, v5
	s_andn2_b64 vcc, exec, s[0:1]
	v_mov_b32_e32 v3, s3
	v_mov_b32_e32 v2, s3
	;; [unrolled: 1-line block ×4, first 2 shown]
	s_cbranch_vccnz .LBB5_134
; %bb.108:
	s_mul_i32 s1, s43, s10
	s_mul_i32 s68, s68, s70
	;; [unrolled: 1-line block ×3, first 2 shown]
	s_add_i32 s1, s1, s41
	s_mul_hi_i32 s5, s46, s7
	s_mul_i32 s4, s46, s7
	s_lshl_b32 s3, s68, 5
	s_add_i32 s12, s1, s0
	s_lshl_b64 s[4:5], s[4:5], 2
	s_mul_hi_i32 s1, s51, s8
	s_mul_i32 s0, s51, s8
	s_add_u32 s4, s38, s4
	s_addc_u32 s5, s39, s5
	s_lshl_b64 s[0:1], s[0:1], 2
	s_add_u32 s0, s4, s0
	s_addc_u32 s1, s5, s1
	s_lshl_b32 s2, s2, 3
	s_add_i32 s2, s2, s3
	v_add_u32_e32 v13, 1, v6
	v_add_u32_e32 v15, s2, v11
	v_mul_hi_u32 v0, v13, v15
	v_add_u32_e32 v0, v15, v0
	v_add_u32_e32 v14, 1, v4
	v_lshrrev_b32_e32 v0, s67, v0
	v_mul_hi_u32 v1, v14, v0
	v_add_u32_e32 v1, v0, v1
	v_lshrrev_b32_e32 v19, s66, v1
	v_mul_lo_u32 v1, v19, s65
	v_sub_u32_e32 v20, v0, v1
	v_mul_lo_u32 v0, v0, s64
	v_sub_u32_e32 v6, v15, v0
	v_mad_u64_u32 v[0:1], s[2:3], v19, s64, v[6:7]
	v_lshl_add_u32 v2, v9, 2, s6
	v_mul_lo_u32 v3, v20, s55
	v_mul_lo_u32 v0, v0, s43
	s_mov_b32 s11, 0
	v_add3_u32 v16, v2, v3, v0
	s_lshl_b32 s2, s12, 2
	s_mov_b32 s3, 0x20000
	v_bfe_u32 v17, v5, 3, 2
	v_mul_u32_u24_e32 v18, 0x204, v12
	v_add_u32_e32 v4, 32, v15
	s_sub_i32 s12, 0, s64
	v_mov_b32_e32 v0, 0
	v_mov_b32_e32 v21, v20
	;; [unrolled: 1-line block ×5, first 2 shown]
.LBB5_109:                              ; =>This Inner Loop Header: Depth=1
	v_cmp_gt_i32_e32 vcc, s42, v21
	v_lshlrev_b32_e32 v22, 2, v16
	v_mov_b32_e32 v8, 0
	s_and_saveexec_b64 s[4:5], vcc
	s_cbranch_execz .LBB5_111
; %bb.110:                              ;   in Loop: Header=BB5_109 Depth=1
	buffer_load_dword v8, v22, s[0:3], 0 offen
.LBB5_111:                              ;   in Loop: Header=BB5_109 Depth=1
	s_or_b64 exec, exec, s[4:5]
	v_mov_b32_e32 v9, 0
	s_and_saveexec_b64 s[4:5], vcc
	s_cbranch_execz .LBB5_113
; %bb.112:                              ;   in Loop: Header=BB5_109 Depth=1
	buffer_load_dword v9, v22, s[0:3], 0 offen offset:4
.LBB5_113:                              ;   in Loop: Header=BB5_109 Depth=1
	s_or_b64 exec, exec, s[4:5]
	v_mov_b32_e32 v23, 0
	v_mov_b32_e32 v24, 0
	s_and_saveexec_b64 s[4:5], vcc
	s_cbranch_execz .LBB5_115
; %bb.114:                              ;   in Loop: Header=BB5_109 Depth=1
	buffer_load_dword v24, v22, s[0:3], 0 offen offset:8
.LBB5_115:                              ;   in Loop: Header=BB5_109 Depth=1
	s_or_b64 exec, exec, s[4:5]
	s_and_saveexec_b64 s[4:5], vcc
	s_cbranch_execz .LBB5_117
; %bb.116:                              ;   in Loop: Header=BB5_109 Depth=1
	buffer_load_dword v23, v22, s[0:3], 0 offen offset:12
.LBB5_117:                              ;   in Loop: Header=BB5_109 Depth=1
	s_or_b64 exec, exec, s[4:5]
	v_readfirstlane_b32 s4, v7
	s_add_i32 s4, s4, s11
	v_lshl_add_u32 v22, s4, 2, v18
	v_or_b32_e32 v22, v22, v17
	v_lshlrev_b32_e32 v22, 2, v22
	ds_read_b32 v22, v22
	v_add_u32_e32 v15, 32, v15
	s_add_i32 s11, s11, 4
	s_cmp_lt_i32 s11, s65
	s_waitcnt vmcnt(0) lgkmcnt(0)
	v_fmac_f32_e32 v0, v8, v22
	v_mul_hi_u32 v8, v13, v4
	v_add_u32_e32 v8, v15, v8
	v_fmac_f32_e32 v3, v23, v22
	v_lshrrev_b32_e32 v23, s67, v8
	v_fmac_f32_e32 v1, v9, v22
	v_mad_u64_u32 v[8:9], s[4:5], s12, v23, v[4:5]
	v_mul_hi_u32 v9, v14, v23
	v_add_u32_e32 v9, v23, v9
	v_lshrrev_b32_e32 v9, s66, v9
	v_sub_u32_e32 v19, v9, v19
	v_sub_u32_e32 v19, v19, v23
	v_fmac_f32_e32 v2, v24, v22
	v_mul_lo_u32 v22, v9, s65
	v_mul_lo_u32 v19, s64, v19
	v_sub_u32_e32 v22, v23, v22
	v_sub_u32_e32 v6, v19, v6
	;; [unrolled: 1-line block ×3, first 2 shown]
	v_add_u32_e32 v6, v4, v6
	v_mul_lo_u32 v19, v20, s55
	v_mul_lo_u32 v6, v6, s43
	v_add_u32_e32 v21, v20, v21
	v_add3_u32 v16, v19, v16, v6
	v_add_u32_e32 v4, 32, v4
	s_cbranch_scc0 .LBB5_133
; %bb.118:                              ;   in Loop: Header=BB5_109 Depth=1
	v_mov_b32_e32 v6, v8
	v_mov_b32_e32 v19, v9
	;; [unrolled: 1-line block ×3, first 2 shown]
	s_branch .LBB5_109
.LBB5_119:
	s_or_b64 exec, exec, s[58:59]
	s_and_saveexec_b64 s[58:59], s[0:1]
	s_cbranch_execz .LBB5_75
.LBB5_120:
	v_and_b32_e32 v16, 0x204, v0
	v_lshl_add_u32 v16, v30, 2, v16
	v_and_or_b32 v16, v5, 3, v16
	v_lshlrev_b32_e32 v16, 2, v16
	v_mov_b32_e32 v18, 0
	ds_write_b32 v16, v18
	s_or_b64 exec, exec, s[58:59]
	s_and_saveexec_b64 s[0:1], s[2:3]
	s_cbranch_execnz .LBB5_76
.LBB5_121:
	s_or_b64 exec, exec, s[0:1]
	s_and_saveexec_b64 s[0:1], s[4:5]
	s_cbranch_execz .LBB5_77
.LBB5_122:
	v_and_b32_e32 v16, 0x204, v0
	v_lshl_add_u32 v16, v24, 2, v16
	v_and_or_b32 v16, v5, 3, v16
	v_lshlrev_b32_e32 v16, 2, v16
	v_mov_b32_e32 v18, 0
	ds_write_b32 v16, v18
	s_or_b64 exec, exec, s[0:1]
	s_and_saveexec_b64 s[0:1], s[34:35]
	s_cbranch_execnz .LBB5_78
.LBB5_123:
	s_or_b64 exec, exec, s[0:1]
	s_and_saveexec_b64 s[0:1], s[30:31]
	s_cbranch_execz .LBB5_79
.LBB5_124:
	v_and_b32_e32 v16, 0x204, v0
	v_lshl_add_u32 v16, v17, 2, v16
	v_and_or_b32 v16, v5, 3, v16
	v_lshlrev_b32_e32 v16, 2, v16
	v_mov_b32_e32 v17, 0
	ds_write_b32 v16, v17
	s_or_b64 exec, exec, s[0:1]
	s_and_saveexec_b64 s[0:1], s[10:11]
	s_cbranch_execnz .LBB5_80
.LBB5_125:
	s_or_b64 exec, exec, s[0:1]
	s_and_saveexec_b64 s[0:1], s[12:13]
	s_cbranch_execz .LBB5_81
.LBB5_126:
	v_and_b32_e32 v15, 0x204, v0
	v_lshl_add_u32 v14, v14, 2, v15
	v_and_or_b32 v14, v5, 3, v14
	v_lshlrev_b32_e32 v14, 2, v14
	v_mov_b32_e32 v15, 0
	ds_write_b32 v14, v15
	s_or_b64 exec, exec, s[0:1]
	s_and_saveexec_b64 s[0:1], s[14:15]
	s_cbranch_execnz .LBB5_82
.LBB5_127:
	s_or_b64 exec, exec, s[0:1]
	s_and_saveexec_b64 s[0:1], s[16:17]
	s_cbranch_execz .LBB5_83
.LBB5_128:
	v_and_b32_e32 v13, 0x204, v0
	v_lshl_add_u32 v12, v12, 2, v13
	v_and_or_b32 v12, v5, 3, v12
	v_lshlrev_b32_e32 v12, 2, v12
	v_mov_b32_e32 v13, 0
	ds_write_b32 v12, v13
	s_or_b64 exec, exec, s[0:1]
	s_and_saveexec_b64 s[0:1], s[18:19]
	s_cbranch_execnz .LBB5_84
.LBB5_129:
	s_or_b64 exec, exec, s[0:1]
	s_and_saveexec_b64 s[0:1], s[20:21]
	s_cbranch_execz .LBB5_85
.LBB5_130:
	v_and_b32_e32 v11, 0x204, v0
	v_lshl_add_u32 v9, v9, 2, v11
	v_and_or_b32 v9, v5, 3, v9
	v_lshlrev_b32_e32 v9, 2, v9
	v_mov_b32_e32 v11, 0
	ds_write_b32 v9, v11
	s_or_b64 exec, exec, s[0:1]
	s_and_saveexec_b64 s[0:1], s[22:23]
	s_cbranch_execnz .LBB5_86
.LBB5_131:
	s_or_b64 exec, exec, s[0:1]
	s_and_saveexec_b64 s[0:1], s[24:25]
	s_cbranch_execz .LBB5_87
.LBB5_132:
	v_and_b32_e32 v8, 0x204, v0
	v_lshl_add_u32 v3, v3, 2, v8
	v_and_or_b32 v3, v5, 3, v3
	v_lshlrev_b32_e32 v3, 2, v3
	v_mov_b32_e32 v8, 0
	ds_write_b32 v3, v8
	s_or_b64 exec, exec, s[0:1]
	s_and_saveexec_b64 s[0:1], s[26:27]
	s_cbranch_execz .LBB5_89
	s_branch .LBB5_88
.LBB5_133:
	v_mov_b32_e32 v8, v12
.LBB5_134:
	v_readfirstlane_b32 s2, v7
	v_and_b32_e32 v4, 28, v10
	v_lshlrev_b32_e32 v6, 2, v4
	v_lshlrev_b32_e32 v7, 4, v11
	v_add_lshl_u32 v4, s2, v4, 7
	v_add3_u32 v4, v6, v7, v4
	ds_write_b128 v4, v[0:3] offset:4112
	; sched_barrier mask(0x00000000)
	v_and_b32_e32 v0, 3, v5
	v_and_or_b32 v0, v11, 12, v0
	v_bfe_u32 v1, v5, 2, 3
	v_lshlrev_b32_e32 v0, 2, v0
	v_mul_u32_u24_e32 v1, 0x210, v1
	s_lshl_b32 s0, s2, 5
	v_add3_u32 v0, v0, v1, s0
	v_add_u32_e32 v2, 0x1000, v0
	s_waitcnt lgkmcnt(0)
	s_barrier
	ds_read2_b32 v[0:1], v2 offset0:68 offset1:100
	ds_read2_b32 v[2:3], v2 offset0:4 offset1:36
	s_mul_i32 s0, s44, s10
	s_add_i32 s3, s0, s41
	s_mul_hi_i32 s1, s47, s7
	s_mul_i32 s0, s47, s7
	s_lshl_b64 s[0:1], s[0:1], 1
	s_add_u32 s4, s52, s0
	s_addc_u32 s5, s53, s1
	s_mul_hi_i32 s1, s9, s8
	s_mul_i32 s0, s9, s8
	s_waitcnt lgkmcnt(0)
	v_add_f32_e32 v2, 0, v2
	s_lshl_b64 s[0:1], s[0:1], 1
	v_add_f32_e32 v2, v3, v2
	s_add_u32 s0, s4, s0
	v_add_f32_e32 v0, v0, v2
	s_addc_u32 s1, s5, s1
	v_add_f32_e32 v0, v1, v0
	s_lshl_b32 s2, s2, 1
	v_cvt_f16_f32_e32 v0, v0
	s_add_i32 s2, s2, s33
	v_and_b32_e32 v1, 31, v5
	v_add_u32_e32 v2, s2, v8
	v_add_u32_e32 v1, s6, v1
	v_mul_lo_u32 v2, v2, s44
	s_lshl_b32 s2, s3, 1
	s_mov_b32 s3, 0x20000
	v_add_lshl_u32 v1, v1, v2, 1
	buffer_store_short v0, v1, s[0:3], 0 offen
	s_endpgm
.LBB5_135:
                                        ; implicit-def: $vgpr4_vgpr5
	s_branch .LBB5_6
.LBB5_136:
                                        ; implicit-def: $vgpr6_vgpr7
	s_branch .LBB5_9
	.section	.rodata,"a",@progbits
	.p2align	6, 0x0
	.amdhsa_kernel _ZN7ck_tile6kentryINS_6gfx9_tELi1ENS_27FmhaFwdSplitKVCombineKernelINS_34BlockFmhaFwdSplitKVCombinePipelineINS_38BlockFmhaSplitKVCombinePipelineProblemIffDF16_Li128ELb0ELi32ENS_31TileFmhaFwdSplitKVCombineTraitsILb0ELb0ELb1ELb0ELi7ELin1EEEEENS_47BlockFmhaFwdSplitKVCombinePipelineDefaultPolicyEEENS_17Default2DEpilogueINS_24Default2DEpilogueProblemIfDF16_Lb0ELb0ELb1EEEvEEEEJNSE_14BatchModeKargsEEEENSt9enable_ifIXnt26kattr_no_packed_fp32_ops_vIT_EEvE4typeEDpT2_
		.amdhsa_group_segment_fixed_size 8320
		.amdhsa_private_segment_fixed_size 0
		.amdhsa_kernarg_size 104
		.amdhsa_user_sgpr_count 6
		.amdhsa_user_sgpr_private_segment_buffer 1
		.amdhsa_user_sgpr_dispatch_ptr 0
		.amdhsa_user_sgpr_queue_ptr 0
		.amdhsa_user_sgpr_kernarg_segment_ptr 1
		.amdhsa_user_sgpr_dispatch_id 0
		.amdhsa_user_sgpr_flat_scratch_init 0
		.amdhsa_user_sgpr_kernarg_preload_length 0
		.amdhsa_user_sgpr_kernarg_preload_offset 0
		.amdhsa_user_sgpr_private_segment_size 0
		.amdhsa_uses_dynamic_stack 0
		.amdhsa_system_sgpr_private_segment_wavefront_offset 0
		.amdhsa_system_sgpr_workgroup_id_x 1
		.amdhsa_system_sgpr_workgroup_id_y 1
		.amdhsa_system_sgpr_workgroup_id_z 1
		.amdhsa_system_sgpr_workgroup_info 0
		.amdhsa_system_vgpr_workitem_id 0
		.amdhsa_next_free_vgpr 63
		.amdhsa_next_free_sgpr 72
		.amdhsa_accum_offset 64
		.amdhsa_reserve_vcc 1
		.amdhsa_reserve_flat_scratch 0
		.amdhsa_float_round_mode_32 0
		.amdhsa_float_round_mode_16_64 0
		.amdhsa_float_denorm_mode_32 0
		.amdhsa_float_denorm_mode_16_64 3
		.amdhsa_dx10_clamp 1
		.amdhsa_ieee_mode 1
		.amdhsa_fp16_overflow 0
		.amdhsa_tg_split 0
		.amdhsa_exception_fp_ieee_invalid_op 0
		.amdhsa_exception_fp_denorm_src 0
		.amdhsa_exception_fp_ieee_div_zero 0
		.amdhsa_exception_fp_ieee_overflow 0
		.amdhsa_exception_fp_ieee_underflow 0
		.amdhsa_exception_fp_ieee_inexact 0
		.amdhsa_exception_int_div_zero 0
	.end_amdhsa_kernel
	.section	.text._ZN7ck_tile6kentryINS_6gfx9_tELi1ENS_27FmhaFwdSplitKVCombineKernelINS_34BlockFmhaFwdSplitKVCombinePipelineINS_38BlockFmhaSplitKVCombinePipelineProblemIffDF16_Li128ELb0ELi32ENS_31TileFmhaFwdSplitKVCombineTraitsILb0ELb0ELb1ELb0ELi7ELin1EEEEENS_47BlockFmhaFwdSplitKVCombinePipelineDefaultPolicyEEENS_17Default2DEpilogueINS_24Default2DEpilogueProblemIfDF16_Lb0ELb0ELb1EEEvEEEEJNSE_14BatchModeKargsEEEENSt9enable_ifIXnt26kattr_no_packed_fp32_ops_vIT_EEvE4typeEDpT2_,"axG",@progbits,_ZN7ck_tile6kentryINS_6gfx9_tELi1ENS_27FmhaFwdSplitKVCombineKernelINS_34BlockFmhaFwdSplitKVCombinePipelineINS_38BlockFmhaSplitKVCombinePipelineProblemIffDF16_Li128ELb0ELi32ENS_31TileFmhaFwdSplitKVCombineTraitsILb0ELb0ELb1ELb0ELi7ELin1EEEEENS_47BlockFmhaFwdSplitKVCombinePipelineDefaultPolicyEEENS_17Default2DEpilogueINS_24Default2DEpilogueProblemIfDF16_Lb0ELb0ELb1EEEvEEEEJNSE_14BatchModeKargsEEEENSt9enable_ifIXnt26kattr_no_packed_fp32_ops_vIT_EEvE4typeEDpT2_,comdat
.Lfunc_end5:
	.size	_ZN7ck_tile6kentryINS_6gfx9_tELi1ENS_27FmhaFwdSplitKVCombineKernelINS_34BlockFmhaFwdSplitKVCombinePipelineINS_38BlockFmhaSplitKVCombinePipelineProblemIffDF16_Li128ELb0ELi32ENS_31TileFmhaFwdSplitKVCombineTraitsILb0ELb0ELb1ELb0ELi7ELin1EEEEENS_47BlockFmhaFwdSplitKVCombinePipelineDefaultPolicyEEENS_17Default2DEpilogueINS_24Default2DEpilogueProblemIfDF16_Lb0ELb0ELb1EEEvEEEEJNSE_14BatchModeKargsEEEENSt9enable_ifIXnt26kattr_no_packed_fp32_ops_vIT_EEvE4typeEDpT2_, .Lfunc_end5-_ZN7ck_tile6kentryINS_6gfx9_tELi1ENS_27FmhaFwdSplitKVCombineKernelINS_34BlockFmhaFwdSplitKVCombinePipelineINS_38BlockFmhaSplitKVCombinePipelineProblemIffDF16_Li128ELb0ELi32ENS_31TileFmhaFwdSplitKVCombineTraitsILb0ELb0ELb1ELb0ELi7ELin1EEEEENS_47BlockFmhaFwdSplitKVCombinePipelineDefaultPolicyEEENS_17Default2DEpilogueINS_24Default2DEpilogueProblemIfDF16_Lb0ELb0ELb1EEEvEEEEJNSE_14BatchModeKargsEEEENSt9enable_ifIXnt26kattr_no_packed_fp32_ops_vIT_EEvE4typeEDpT2_
                                        ; -- End function
	.section	.AMDGPU.csdata,"",@progbits
; Kernel info:
; codeLenInByte = 9672
; NumSgprs: 76
; NumVgprs: 63
; NumAgprs: 0
; TotalNumVgprs: 63
; ScratchSize: 0
; MemoryBound: 0
; FloatMode: 192
; IeeeMode: 1
; LDSByteSize: 8320 bytes/workgroup (compile time only)
; SGPRBlocks: 9
; VGPRBlocks: 7
; NumSGPRsForWavesPerEU: 76
; NumVGPRsForWavesPerEU: 63
; AccumOffset: 64
; Occupancy: 7
; WaveLimiterHint : 0
; COMPUTE_PGM_RSRC2:SCRATCH_EN: 0
; COMPUTE_PGM_RSRC2:USER_SGPR: 6
; COMPUTE_PGM_RSRC2:TRAP_HANDLER: 0
; COMPUTE_PGM_RSRC2:TGID_X_EN: 1
; COMPUTE_PGM_RSRC2:TGID_Y_EN: 1
; COMPUTE_PGM_RSRC2:TGID_Z_EN: 1
; COMPUTE_PGM_RSRC2:TIDIG_COMP_CNT: 0
; COMPUTE_PGM_RSRC3_GFX90A:ACCUM_OFFSET: 15
; COMPUTE_PGM_RSRC3_GFX90A:TG_SPLIT: 0
	.text
	.p2alignl 6, 3212836864
	.fill 256, 4, 3212836864
	.protected	_ZN7ck_tile34BlockFmhaFwdSplitKVCombinePipelineINS_38BlockFmhaSplitKVCombinePipelineProblemIffDF16_Li128ELb0ELi32ENS_31TileFmhaFwdSplitKVCombineTraitsILb0ELb0ELb1ELb0ELi3ELin1EEEEENS_47BlockFmhaFwdSplitKVCombinePipelineDefaultPolicyEE3kM0E ; @_ZN7ck_tile34BlockFmhaFwdSplitKVCombinePipelineINS_38BlockFmhaSplitKVCombinePipelineProblemIffDF16_Li128ELb0ELi32ENS_31TileFmhaFwdSplitKVCombineTraitsILb0ELb0ELb1ELb0ELi3ELin1EEEEENS_47BlockFmhaFwdSplitKVCombinePipelineDefaultPolicyEE3kM0E
	.type	_ZN7ck_tile34BlockFmhaFwdSplitKVCombinePipelineINS_38BlockFmhaSplitKVCombinePipelineProblemIffDF16_Li128ELb0ELi32ENS_31TileFmhaFwdSplitKVCombineTraitsILb0ELb0ELb1ELb0ELi3ELin1EEEEENS_47BlockFmhaFwdSplitKVCombinePipelineDefaultPolicyEE3kM0E,@object
	.section	.rodata._ZN7ck_tile34BlockFmhaFwdSplitKVCombinePipelineINS_38BlockFmhaSplitKVCombinePipelineProblemIffDF16_Li128ELb0ELi32ENS_31TileFmhaFwdSplitKVCombineTraitsILb0ELb0ELb1ELb0ELi3ELin1EEEEENS_47BlockFmhaFwdSplitKVCombinePipelineDefaultPolicyEE3kM0E,"aG",@progbits,_ZN7ck_tile34BlockFmhaFwdSplitKVCombinePipelineINS_38BlockFmhaSplitKVCombinePipelineProblemIffDF16_Li128ELb0ELi32ENS_31TileFmhaFwdSplitKVCombineTraitsILb0ELb0ELb1ELb0ELi3ELin1EEEEENS_47BlockFmhaFwdSplitKVCombinePipelineDefaultPolicyEE3kM0E,comdat
	.weak	_ZN7ck_tile34BlockFmhaFwdSplitKVCombinePipelineINS_38BlockFmhaSplitKVCombinePipelineProblemIffDF16_Li128ELb0ELi32ENS_31TileFmhaFwdSplitKVCombineTraitsILb0ELb0ELb1ELb0ELi3ELin1EEEEENS_47BlockFmhaFwdSplitKVCombinePipelineDefaultPolicyEE3kM0E
	.p2align	2, 0x0
_ZN7ck_tile34BlockFmhaFwdSplitKVCombinePipelineINS_38BlockFmhaSplitKVCombinePipelineProblemIffDF16_Li128ELb0ELi32ENS_31TileFmhaFwdSplitKVCombineTraitsILb0ELb0ELb1ELb0ELi3ELin1EEEEENS_47BlockFmhaFwdSplitKVCombinePipelineDefaultPolicyEE3kM0E:
	.long	8                               ; 0x8
	.size	_ZN7ck_tile34BlockFmhaFwdSplitKVCombinePipelineINS_38BlockFmhaSplitKVCombinePipelineProblemIffDF16_Li128ELb0ELi32ENS_31TileFmhaFwdSplitKVCombineTraitsILb0ELb0ELb1ELb0ELi3ELin1EEEEENS_47BlockFmhaFwdSplitKVCombinePipelineDefaultPolicyEE3kM0E, 4

	.protected	_ZN7ck_tile34BlockFmhaFwdSplitKVCombinePipelineINS_38BlockFmhaSplitKVCombinePipelineProblemIffDF16_Li128ELb0ELi32ENS_31TileFmhaFwdSplitKVCombineTraitsILb0ELb0ELb1ELb0ELi4ELin1EEEEENS_47BlockFmhaFwdSplitKVCombinePipelineDefaultPolicyEE3kM0E ; @_ZN7ck_tile34BlockFmhaFwdSplitKVCombinePipelineINS_38BlockFmhaSplitKVCombinePipelineProblemIffDF16_Li128ELb0ELi32ENS_31TileFmhaFwdSplitKVCombineTraitsILb0ELb0ELb1ELb0ELi4ELin1EEEEENS_47BlockFmhaFwdSplitKVCombinePipelineDefaultPolicyEE3kM0E
	.type	_ZN7ck_tile34BlockFmhaFwdSplitKVCombinePipelineINS_38BlockFmhaSplitKVCombinePipelineProblemIffDF16_Li128ELb0ELi32ENS_31TileFmhaFwdSplitKVCombineTraitsILb0ELb0ELb1ELb0ELi4ELin1EEEEENS_47BlockFmhaFwdSplitKVCombinePipelineDefaultPolicyEE3kM0E,@object
	.section	.rodata._ZN7ck_tile34BlockFmhaFwdSplitKVCombinePipelineINS_38BlockFmhaSplitKVCombinePipelineProblemIffDF16_Li128ELb0ELi32ENS_31TileFmhaFwdSplitKVCombineTraitsILb0ELb0ELb1ELb0ELi4ELin1EEEEENS_47BlockFmhaFwdSplitKVCombinePipelineDefaultPolicyEE3kM0E,"aG",@progbits,_ZN7ck_tile34BlockFmhaFwdSplitKVCombinePipelineINS_38BlockFmhaSplitKVCombinePipelineProblemIffDF16_Li128ELb0ELi32ENS_31TileFmhaFwdSplitKVCombineTraitsILb0ELb0ELb1ELb0ELi4ELin1EEEEENS_47BlockFmhaFwdSplitKVCombinePipelineDefaultPolicyEE3kM0E,comdat
	.weak	_ZN7ck_tile34BlockFmhaFwdSplitKVCombinePipelineINS_38BlockFmhaSplitKVCombinePipelineProblemIffDF16_Li128ELb0ELi32ENS_31TileFmhaFwdSplitKVCombineTraitsILb0ELb0ELb1ELb0ELi4ELin1EEEEENS_47BlockFmhaFwdSplitKVCombinePipelineDefaultPolicyEE3kM0E
	.p2align	2, 0x0
_ZN7ck_tile34BlockFmhaFwdSplitKVCombinePipelineINS_38BlockFmhaSplitKVCombinePipelineProblemIffDF16_Li128ELb0ELi32ENS_31TileFmhaFwdSplitKVCombineTraitsILb0ELb0ELb1ELb0ELi4ELin1EEEEENS_47BlockFmhaFwdSplitKVCombinePipelineDefaultPolicyEE3kM0E:
	.long	8                               ; 0x8
	.size	_ZN7ck_tile34BlockFmhaFwdSplitKVCombinePipelineINS_38BlockFmhaSplitKVCombinePipelineProblemIffDF16_Li128ELb0ELi32ENS_31TileFmhaFwdSplitKVCombineTraitsILb0ELb0ELb1ELb0ELi4ELin1EEEEENS_47BlockFmhaFwdSplitKVCombinePipelineDefaultPolicyEE3kM0E, 4

	.protected	_ZN7ck_tile34BlockFmhaFwdSplitKVCombinePipelineINS_38BlockFmhaSplitKVCombinePipelineProblemIffDF16_Li128ELb0ELi32ENS_31TileFmhaFwdSplitKVCombineTraitsILb0ELb0ELb1ELb0ELi5ELin1EEEEENS_47BlockFmhaFwdSplitKVCombinePipelineDefaultPolicyEE3kM0E ; @_ZN7ck_tile34BlockFmhaFwdSplitKVCombinePipelineINS_38BlockFmhaSplitKVCombinePipelineProblemIffDF16_Li128ELb0ELi32ENS_31TileFmhaFwdSplitKVCombineTraitsILb0ELb0ELb1ELb0ELi5ELin1EEEEENS_47BlockFmhaFwdSplitKVCombinePipelineDefaultPolicyEE3kM0E
	.type	_ZN7ck_tile34BlockFmhaFwdSplitKVCombinePipelineINS_38BlockFmhaSplitKVCombinePipelineProblemIffDF16_Li128ELb0ELi32ENS_31TileFmhaFwdSplitKVCombineTraitsILb0ELb0ELb1ELb0ELi5ELin1EEEEENS_47BlockFmhaFwdSplitKVCombinePipelineDefaultPolicyEE3kM0E,@object
	.section	.rodata._ZN7ck_tile34BlockFmhaFwdSplitKVCombinePipelineINS_38BlockFmhaSplitKVCombinePipelineProblemIffDF16_Li128ELb0ELi32ENS_31TileFmhaFwdSplitKVCombineTraitsILb0ELb0ELb1ELb0ELi5ELin1EEEEENS_47BlockFmhaFwdSplitKVCombinePipelineDefaultPolicyEE3kM0E,"aG",@progbits,_ZN7ck_tile34BlockFmhaFwdSplitKVCombinePipelineINS_38BlockFmhaSplitKVCombinePipelineProblemIffDF16_Li128ELb0ELi32ENS_31TileFmhaFwdSplitKVCombineTraitsILb0ELb0ELb1ELb0ELi5ELin1EEEEENS_47BlockFmhaFwdSplitKVCombinePipelineDefaultPolicyEE3kM0E,comdat
	.weak	_ZN7ck_tile34BlockFmhaFwdSplitKVCombinePipelineINS_38BlockFmhaSplitKVCombinePipelineProblemIffDF16_Li128ELb0ELi32ENS_31TileFmhaFwdSplitKVCombineTraitsILb0ELb0ELb1ELb0ELi5ELin1EEEEENS_47BlockFmhaFwdSplitKVCombinePipelineDefaultPolicyEE3kM0E
	.p2align	2, 0x0
_ZN7ck_tile34BlockFmhaFwdSplitKVCombinePipelineINS_38BlockFmhaSplitKVCombinePipelineProblemIffDF16_Li128ELb0ELi32ENS_31TileFmhaFwdSplitKVCombineTraitsILb0ELb0ELb1ELb0ELi5ELin1EEEEENS_47BlockFmhaFwdSplitKVCombinePipelineDefaultPolicyEE3kM0E:
	.long	8                               ; 0x8
	.size	_ZN7ck_tile34BlockFmhaFwdSplitKVCombinePipelineINS_38BlockFmhaSplitKVCombinePipelineProblemIffDF16_Li128ELb0ELi32ENS_31TileFmhaFwdSplitKVCombineTraitsILb0ELb0ELb1ELb0ELi5ELin1EEEEENS_47BlockFmhaFwdSplitKVCombinePipelineDefaultPolicyEE3kM0E, 4

	.protected	_ZN7ck_tile34BlockFmhaFwdSplitKVCombinePipelineINS_38BlockFmhaSplitKVCombinePipelineProblemIffDF16_Li128ELb0ELi32ENS_31TileFmhaFwdSplitKVCombineTraitsILb0ELb0ELb1ELb0ELi6ELin1EEEEENS_47BlockFmhaFwdSplitKVCombinePipelineDefaultPolicyEE3kM0E ; @_ZN7ck_tile34BlockFmhaFwdSplitKVCombinePipelineINS_38BlockFmhaSplitKVCombinePipelineProblemIffDF16_Li128ELb0ELi32ENS_31TileFmhaFwdSplitKVCombineTraitsILb0ELb0ELb1ELb0ELi6ELin1EEEEENS_47BlockFmhaFwdSplitKVCombinePipelineDefaultPolicyEE3kM0E
	.type	_ZN7ck_tile34BlockFmhaFwdSplitKVCombinePipelineINS_38BlockFmhaSplitKVCombinePipelineProblemIffDF16_Li128ELb0ELi32ENS_31TileFmhaFwdSplitKVCombineTraitsILb0ELb0ELb1ELb0ELi6ELin1EEEEENS_47BlockFmhaFwdSplitKVCombinePipelineDefaultPolicyEE3kM0E,@object
	.section	.rodata._ZN7ck_tile34BlockFmhaFwdSplitKVCombinePipelineINS_38BlockFmhaSplitKVCombinePipelineProblemIffDF16_Li128ELb0ELi32ENS_31TileFmhaFwdSplitKVCombineTraitsILb0ELb0ELb1ELb0ELi6ELin1EEEEENS_47BlockFmhaFwdSplitKVCombinePipelineDefaultPolicyEE3kM0E,"aG",@progbits,_ZN7ck_tile34BlockFmhaFwdSplitKVCombinePipelineINS_38BlockFmhaSplitKVCombinePipelineProblemIffDF16_Li128ELb0ELi32ENS_31TileFmhaFwdSplitKVCombineTraitsILb0ELb0ELb1ELb0ELi6ELin1EEEEENS_47BlockFmhaFwdSplitKVCombinePipelineDefaultPolicyEE3kM0E,comdat
	.weak	_ZN7ck_tile34BlockFmhaFwdSplitKVCombinePipelineINS_38BlockFmhaSplitKVCombinePipelineProblemIffDF16_Li128ELb0ELi32ENS_31TileFmhaFwdSplitKVCombineTraitsILb0ELb0ELb1ELb0ELi6ELin1EEEEENS_47BlockFmhaFwdSplitKVCombinePipelineDefaultPolicyEE3kM0E
	.p2align	2, 0x0
_ZN7ck_tile34BlockFmhaFwdSplitKVCombinePipelineINS_38BlockFmhaSplitKVCombinePipelineProblemIffDF16_Li128ELb0ELi32ENS_31TileFmhaFwdSplitKVCombineTraitsILb0ELb0ELb1ELb0ELi6ELin1EEEEENS_47BlockFmhaFwdSplitKVCombinePipelineDefaultPolicyEE3kM0E:
	.long	8                               ; 0x8
	.size	_ZN7ck_tile34BlockFmhaFwdSplitKVCombinePipelineINS_38BlockFmhaSplitKVCombinePipelineProblemIffDF16_Li128ELb0ELi32ENS_31TileFmhaFwdSplitKVCombineTraitsILb0ELb0ELb1ELb0ELi6ELin1EEEEENS_47BlockFmhaFwdSplitKVCombinePipelineDefaultPolicyEE3kM0E, 4

	.protected	_ZN7ck_tile34BlockFmhaFwdSplitKVCombinePipelineINS_38BlockFmhaSplitKVCombinePipelineProblemIffDF16_Li128ELb0ELi32ENS_31TileFmhaFwdSplitKVCombineTraitsILb0ELb0ELb1ELb0ELi7ELin1EEEEENS_47BlockFmhaFwdSplitKVCombinePipelineDefaultPolicyEE3kM0E ; @_ZN7ck_tile34BlockFmhaFwdSplitKVCombinePipelineINS_38BlockFmhaSplitKVCombinePipelineProblemIffDF16_Li128ELb0ELi32ENS_31TileFmhaFwdSplitKVCombineTraitsILb0ELb0ELb1ELb0ELi7ELin1EEEEENS_47BlockFmhaFwdSplitKVCombinePipelineDefaultPolicyEE3kM0E
	.type	_ZN7ck_tile34BlockFmhaFwdSplitKVCombinePipelineINS_38BlockFmhaSplitKVCombinePipelineProblemIffDF16_Li128ELb0ELi32ENS_31TileFmhaFwdSplitKVCombineTraitsILb0ELb0ELb1ELb0ELi7ELin1EEEEENS_47BlockFmhaFwdSplitKVCombinePipelineDefaultPolicyEE3kM0E,@object
	.section	.rodata._ZN7ck_tile34BlockFmhaFwdSplitKVCombinePipelineINS_38BlockFmhaSplitKVCombinePipelineProblemIffDF16_Li128ELb0ELi32ENS_31TileFmhaFwdSplitKVCombineTraitsILb0ELb0ELb1ELb0ELi7ELin1EEEEENS_47BlockFmhaFwdSplitKVCombinePipelineDefaultPolicyEE3kM0E,"aG",@progbits,_ZN7ck_tile34BlockFmhaFwdSplitKVCombinePipelineINS_38BlockFmhaSplitKVCombinePipelineProblemIffDF16_Li128ELb0ELi32ENS_31TileFmhaFwdSplitKVCombineTraitsILb0ELb0ELb1ELb0ELi7ELin1EEEEENS_47BlockFmhaFwdSplitKVCombinePipelineDefaultPolicyEE3kM0E,comdat
	.weak	_ZN7ck_tile34BlockFmhaFwdSplitKVCombinePipelineINS_38BlockFmhaSplitKVCombinePipelineProblemIffDF16_Li128ELb0ELi32ENS_31TileFmhaFwdSplitKVCombineTraitsILb0ELb0ELb1ELb0ELi7ELin1EEEEENS_47BlockFmhaFwdSplitKVCombinePipelineDefaultPolicyEE3kM0E
	.p2align	2, 0x0
_ZN7ck_tile34BlockFmhaFwdSplitKVCombinePipelineINS_38BlockFmhaSplitKVCombinePipelineProblemIffDF16_Li128ELb0ELi32ENS_31TileFmhaFwdSplitKVCombineTraitsILb0ELb0ELb1ELb0ELi7ELin1EEEEENS_47BlockFmhaFwdSplitKVCombinePipelineDefaultPolicyEE3kM0E:
	.long	8                               ; 0x8
	.size	_ZN7ck_tile34BlockFmhaFwdSplitKVCombinePipelineINS_38BlockFmhaSplitKVCombinePipelineProblemIffDF16_Li128ELb0ELi32ENS_31TileFmhaFwdSplitKVCombineTraitsILb0ELb0ELb1ELb0ELi7ELin1EEEEENS_47BlockFmhaFwdSplitKVCombinePipelineDefaultPolicyEE3kM0E, 4

	.type	__hip_cuid_7567fb55b491aa9,@object ; @__hip_cuid_7567fb55b491aa9
	.section	.bss,"aw",@nobits
	.globl	__hip_cuid_7567fb55b491aa9
__hip_cuid_7567fb55b491aa9:
	.byte	0                               ; 0x0
	.size	__hip_cuid_7567fb55b491aa9, 1

	.ident	"AMD clang version 19.0.0git (https://github.com/RadeonOpenCompute/llvm-project roc-6.4.0 25133 c7fe45cf4b819c5991fe208aaa96edf142730f1d)"
	.section	".note.GNU-stack","",@progbits
	.addrsig
	.addrsig_sym __hip_cuid_7567fb55b491aa9
	.amdgpu_metadata
---
amdhsa.kernels:
  - .agpr_count:     0
    .args:           []
    .group_segment_fixed_size: 0
    .kernarg_segment_align: 4
    .kernarg_segment_size: 0
    .language:       OpenCL C
    .language_version:
      - 2
      - 0
    .max_flat_workgroup_size: 1024
    .name:           _ZN7ck_tileL11flush_cacheEv
    .private_segment_fixed_size: 0
    .sgpr_count:     4
    .sgpr_spill_count: 0
    .symbol:         _ZN7ck_tileL11flush_cacheEv.kd
    .uses_dynamic_stack: false
    .vgpr_count:     0
    .vgpr_spill_count: 0
    .wavefront_size: 64
  - .agpr_count:     0
    .args:
      - .offset:         0
        .size:           104
        .value_kind:     by_value
    .group_segment_fixed_size: 4492
    .kernarg_segment_align: 8
    .kernarg_segment_size: 104
    .language:       OpenCL C
    .language_version:
      - 2
      - 0
    .max_flat_workgroup_size: 256
    .name:           _ZN7ck_tile6kentryINS_6gfx9_tELi3ENS_27FmhaFwdSplitKVCombineKernelINS_34BlockFmhaFwdSplitKVCombinePipelineINS_38BlockFmhaSplitKVCombinePipelineProblemIffDF16_Li128ELb0ELi32ENS_31TileFmhaFwdSplitKVCombineTraitsILb0ELb0ELb1ELb0ELi3ELin1EEEEENS_47BlockFmhaFwdSplitKVCombinePipelineDefaultPolicyEEENS_17Default2DEpilogueINS_24Default2DEpilogueProblemIfDF16_Lb0ELb0ELb1EEEvEEEEJNSE_14BatchModeKargsEEEENSt9enable_ifIXnt26kattr_no_packed_fp32_ops_vIT_EEvE4typeEDpT2_
    .private_segment_fixed_size: 0
    .sgpr_count:     52
    .sgpr_spill_count: 0
    .symbol:         _ZN7ck_tile6kentryINS_6gfx9_tELi3ENS_27FmhaFwdSplitKVCombineKernelINS_34BlockFmhaFwdSplitKVCombinePipelineINS_38BlockFmhaSplitKVCombinePipelineProblemIffDF16_Li128ELb0ELi32ENS_31TileFmhaFwdSplitKVCombineTraitsILb0ELb0ELb1ELb0ELi3ELin1EEEEENS_47BlockFmhaFwdSplitKVCombinePipelineDefaultPolicyEEENS_17Default2DEpilogueINS_24Default2DEpilogueProblemIfDF16_Lb0ELb0ELb1EEEvEEEEJNSE_14BatchModeKargsEEEENSt9enable_ifIXnt26kattr_no_packed_fp32_ops_vIT_EEvE4typeEDpT2_.kd
    .uses_dynamic_stack: false
    .vgpr_count:     23
    .vgpr_spill_count: 0
    .wavefront_size: 64
  - .agpr_count:     0
    .args:
      - .offset:         0
        .size:           104
        .value_kind:     by_value
    .group_segment_fixed_size: 4748
    .kernarg_segment_align: 8
    .kernarg_segment_size: 104
    .language:       OpenCL C
    .language_version:
      - 2
      - 0
    .max_flat_workgroup_size: 256
    .name:           _ZN7ck_tile6kentryINS_6gfx9_tELi3ENS_27FmhaFwdSplitKVCombineKernelINS_34BlockFmhaFwdSplitKVCombinePipelineINS_38BlockFmhaSplitKVCombinePipelineProblemIffDF16_Li128ELb0ELi32ENS_31TileFmhaFwdSplitKVCombineTraitsILb0ELb0ELb1ELb0ELi4ELin1EEEEENS_47BlockFmhaFwdSplitKVCombinePipelineDefaultPolicyEEENS_17Default2DEpilogueINS_24Default2DEpilogueProblemIfDF16_Lb0ELb0ELb1EEEvEEEEJNSE_14BatchModeKargsEEEENSt9enable_ifIXnt26kattr_no_packed_fp32_ops_vIT_EEvE4typeEDpT2_
    .private_segment_fixed_size: 0
    .sgpr_count:     52
    .sgpr_spill_count: 0
    .symbol:         _ZN7ck_tile6kentryINS_6gfx9_tELi3ENS_27FmhaFwdSplitKVCombineKernelINS_34BlockFmhaFwdSplitKVCombinePipelineINS_38BlockFmhaSplitKVCombinePipelineProblemIffDF16_Li128ELb0ELi32ENS_31TileFmhaFwdSplitKVCombineTraitsILb0ELb0ELb1ELb0ELi4ELin1EEEEENS_47BlockFmhaFwdSplitKVCombinePipelineDefaultPolicyEEENS_17Default2DEpilogueINS_24Default2DEpilogueProblemIfDF16_Lb0ELb0ELb1EEEvEEEEJNSE_14BatchModeKargsEEEENSt9enable_ifIXnt26kattr_no_packed_fp32_ops_vIT_EEvE4typeEDpT2_.kd
    .uses_dynamic_stack: false
    .vgpr_count:     23
    .vgpr_spill_count: 0
    .wavefront_size: 64
  - .agpr_count:     0
    .args:
      - .offset:         0
        .size:           104
        .value_kind:     by_value
    .group_segment_fixed_size: 5260
    .kernarg_segment_align: 8
    .kernarg_segment_size: 104
    .language:       OpenCL C
    .language_version:
      - 2
      - 0
    .max_flat_workgroup_size: 256
    .name:           _ZN7ck_tile6kentryINS_6gfx9_tELi3ENS_27FmhaFwdSplitKVCombineKernelINS_34BlockFmhaFwdSplitKVCombinePipelineINS_38BlockFmhaSplitKVCombinePipelineProblemIffDF16_Li128ELb0ELi32ENS_31TileFmhaFwdSplitKVCombineTraitsILb0ELb0ELb1ELb0ELi5ELin1EEEEENS_47BlockFmhaFwdSplitKVCombinePipelineDefaultPolicyEEENS_17Default2DEpilogueINS_24Default2DEpilogueProblemIfDF16_Lb0ELb0ELb1EEEvEEEEJNSE_14BatchModeKargsEEEENSt9enable_ifIXnt26kattr_no_packed_fp32_ops_vIT_EEvE4typeEDpT2_
    .private_segment_fixed_size: 0
    .sgpr_count:     52
    .sgpr_spill_count: 0
    .symbol:         _ZN7ck_tile6kentryINS_6gfx9_tELi3ENS_27FmhaFwdSplitKVCombineKernelINS_34BlockFmhaFwdSplitKVCombinePipelineINS_38BlockFmhaSplitKVCombinePipelineProblemIffDF16_Li128ELb0ELi32ENS_31TileFmhaFwdSplitKVCombineTraitsILb0ELb0ELb1ELb0ELi5ELin1EEEEENS_47BlockFmhaFwdSplitKVCombinePipelineDefaultPolicyEEENS_17Default2DEpilogueINS_24Default2DEpilogueProblemIfDF16_Lb0ELb0ELb1EEEvEEEEJNSE_14BatchModeKargsEEEENSt9enable_ifIXnt26kattr_no_packed_fp32_ops_vIT_EEvE4typeEDpT2_.kd
    .uses_dynamic_stack: false
    .vgpr_count:     27
    .vgpr_spill_count: 0
    .wavefront_size: 64
  - .agpr_count:     0
    .args:
      - .offset:         0
        .size:           104
        .value_kind:     by_value
    .group_segment_fixed_size: 6280
    .kernarg_segment_align: 8
    .kernarg_segment_size: 104
    .language:       OpenCL C
    .language_version:
      - 2
      - 0
    .max_flat_workgroup_size: 256
    .name:           _ZN7ck_tile6kentryINS_6gfx9_tELi2ENS_27FmhaFwdSplitKVCombineKernelINS_34BlockFmhaFwdSplitKVCombinePipelineINS_38BlockFmhaSplitKVCombinePipelineProblemIffDF16_Li128ELb0ELi32ENS_31TileFmhaFwdSplitKVCombineTraitsILb0ELb0ELb1ELb0ELi6ELin1EEEEENS_47BlockFmhaFwdSplitKVCombinePipelineDefaultPolicyEEENS_17Default2DEpilogueINS_24Default2DEpilogueProblemIfDF16_Lb0ELb0ELb1EEEvEEEEJNSE_14BatchModeKargsEEEENSt9enable_ifIXnt26kattr_no_packed_fp32_ops_vIT_EEvE4typeEDpT2_
    .private_segment_fixed_size: 0
    .sgpr_count:     60
    .sgpr_spill_count: 0
    .symbol:         _ZN7ck_tile6kentryINS_6gfx9_tELi2ENS_27FmhaFwdSplitKVCombineKernelINS_34BlockFmhaFwdSplitKVCombinePipelineINS_38BlockFmhaSplitKVCombinePipelineProblemIffDF16_Li128ELb0ELi32ENS_31TileFmhaFwdSplitKVCombineTraitsILb0ELb0ELb1ELb0ELi6ELin1EEEEENS_47BlockFmhaFwdSplitKVCombinePipelineDefaultPolicyEEENS_17Default2DEpilogueINS_24Default2DEpilogueProblemIfDF16_Lb0ELb0ELb1EEEvEEEEJNSE_14BatchModeKargsEEEENSt9enable_ifIXnt26kattr_no_packed_fp32_ops_vIT_EEvE4typeEDpT2_.kd
    .uses_dynamic_stack: false
    .vgpr_count:     40
    .vgpr_spill_count: 0
    .wavefront_size: 64
  - .agpr_count:     0
    .args:
      - .offset:         0
        .size:           104
        .value_kind:     by_value
    .group_segment_fixed_size: 8320
    .kernarg_segment_align: 8
    .kernarg_segment_size: 104
    .language:       OpenCL C
    .language_version:
      - 2
      - 0
    .max_flat_workgroup_size: 256
    .name:           _ZN7ck_tile6kentryINS_6gfx9_tELi1ENS_27FmhaFwdSplitKVCombineKernelINS_34BlockFmhaFwdSplitKVCombinePipelineINS_38BlockFmhaSplitKVCombinePipelineProblemIffDF16_Li128ELb0ELi32ENS_31TileFmhaFwdSplitKVCombineTraitsILb0ELb0ELb1ELb0ELi7ELin1EEEEENS_47BlockFmhaFwdSplitKVCombinePipelineDefaultPolicyEEENS_17Default2DEpilogueINS_24Default2DEpilogueProblemIfDF16_Lb0ELb0ELb1EEEvEEEEJNSE_14BatchModeKargsEEEENSt9enable_ifIXnt26kattr_no_packed_fp32_ops_vIT_EEvE4typeEDpT2_
    .private_segment_fixed_size: 0
    .sgpr_count:     76
    .sgpr_spill_count: 0
    .symbol:         _ZN7ck_tile6kentryINS_6gfx9_tELi1ENS_27FmhaFwdSplitKVCombineKernelINS_34BlockFmhaFwdSplitKVCombinePipelineINS_38BlockFmhaSplitKVCombinePipelineProblemIffDF16_Li128ELb0ELi32ENS_31TileFmhaFwdSplitKVCombineTraitsILb0ELb0ELb1ELb0ELi7ELin1EEEEENS_47BlockFmhaFwdSplitKVCombinePipelineDefaultPolicyEEENS_17Default2DEpilogueINS_24Default2DEpilogueProblemIfDF16_Lb0ELb0ELb1EEEvEEEEJNSE_14BatchModeKargsEEEENSt9enable_ifIXnt26kattr_no_packed_fp32_ops_vIT_EEvE4typeEDpT2_.kd
    .uses_dynamic_stack: false
    .vgpr_count:     63
    .vgpr_spill_count: 0
    .wavefront_size: 64
amdhsa.target:   amdgcn-amd-amdhsa--gfx90a
amdhsa.version:
  - 1
  - 2
...

	.end_amdgpu_metadata
